;; amdgpu-corpus repo=ROCm/rocFFT kind=compiled arch=gfx950 opt=O3
	.text
	.amdgcn_target "amdgcn-amd-amdhsa--gfx950"
	.amdhsa_code_object_version 6
	.protected	fft_rtc_fwd_len1768_factors_17_13_8_wgs_136_tpt_136_halfLds_half_ip_CI_unitstride_sbrr_C2R_dirReg ; -- Begin function fft_rtc_fwd_len1768_factors_17_13_8_wgs_136_tpt_136_halfLds_half_ip_CI_unitstride_sbrr_C2R_dirReg
	.globl	fft_rtc_fwd_len1768_factors_17_13_8_wgs_136_tpt_136_halfLds_half_ip_CI_unitstride_sbrr_C2R_dirReg
	.p2align	8
	.type	fft_rtc_fwd_len1768_factors_17_13_8_wgs_136_tpt_136_halfLds_half_ip_CI_unitstride_sbrr_C2R_dirReg,@function
fft_rtc_fwd_len1768_factors_17_13_8_wgs_136_tpt_136_halfLds_half_ip_CI_unitstride_sbrr_C2R_dirReg: ; @fft_rtc_fwd_len1768_factors_17_13_8_wgs_136_tpt_136_halfLds_half_ip_CI_unitstride_sbrr_C2R_dirReg
; %bb.0:
	s_load_dwordx2 s[8:9], s[0:1], 0x50
	s_load_dwordx4 s[4:7], s[0:1], 0x0
	s_load_dwordx2 s[10:11], s[0:1], 0x18
	v_mul_u32_u24_e32 v1, 0x1e2, v0
	v_add_u32_sdwa v6, s2, v1 dst_sel:DWORD dst_unused:UNUSED_PAD src0_sel:DWORD src1_sel:WORD_1
	v_mov_b32_e32 v4, 0
	s_waitcnt lgkmcnt(0)
	v_cmp_lt_u64_e64 s[2:3], s[6:7], 2
	v_mov_b32_e32 v7, v4
	s_and_b64 vcc, exec, s[2:3]
	v_mov_b64_e32 v[2:3], 0
	s_cbranch_vccnz .LBB0_8
; %bb.1:
	s_load_dwordx2 s[2:3], s[0:1], 0x10
	s_add_u32 s12, s10, 8
	s_addc_u32 s13, s11, 0
	s_mov_b64 s[14:15], 1
	v_mov_b64_e32 v[2:3], 0
	s_waitcnt lgkmcnt(0)
	s_add_u32 s16, s2, 8
	s_addc_u32 s17, s3, 0
.LBB0_2:                                ; =>This Inner Loop Header: Depth=1
	s_load_dwordx2 s[18:19], s[16:17], 0x0
                                        ; implicit-def: $vgpr8_vgpr9
	s_waitcnt lgkmcnt(0)
	v_or_b32_e32 v5, s19, v7
	v_cmp_ne_u64_e32 vcc, 0, v[4:5]
	s_and_saveexec_b64 s[2:3], vcc
	s_xor_b64 s[20:21], exec, s[2:3]
	s_cbranch_execz .LBB0_4
; %bb.3:                                ;   in Loop: Header=BB0_2 Depth=1
	v_cvt_f32_u32_e32 v1, s18
	v_cvt_f32_u32_e32 v5, s19
	s_sub_u32 s2, 0, s18
	s_subb_u32 s3, 0, s19
	v_fmac_f32_e32 v1, 0x4f800000, v5
	v_rcp_f32_e32 v1, v1
	s_nop 0
	v_mul_f32_e32 v1, 0x5f7ffffc, v1
	v_mul_f32_e32 v5, 0x2f800000, v1
	v_trunc_f32_e32 v5, v5
	v_fmac_f32_e32 v1, 0xcf800000, v5
	v_cvt_u32_f32_e32 v5, v5
	v_cvt_u32_f32_e32 v1, v1
	v_mul_lo_u32 v8, s2, v5
	v_mul_hi_u32 v10, s2, v1
	v_mul_lo_u32 v9, s3, v1
	v_add_u32_e32 v10, v10, v8
	v_mul_lo_u32 v12, s2, v1
	v_add_u32_e32 v13, v10, v9
	v_mul_hi_u32 v8, v1, v12
	v_mul_hi_u32 v11, v1, v13
	v_mul_lo_u32 v10, v1, v13
	v_mov_b32_e32 v9, v4
	v_lshl_add_u64 v[8:9], v[8:9], 0, v[10:11]
	v_mul_hi_u32 v11, v5, v12
	v_mul_lo_u32 v12, v5, v12
	v_add_co_u32_e32 v8, vcc, v8, v12
	v_mul_hi_u32 v10, v5, v13
	s_nop 0
	v_addc_co_u32_e32 v8, vcc, v9, v11, vcc
	v_mov_b32_e32 v9, v4
	s_nop 0
	v_addc_co_u32_e32 v11, vcc, 0, v10, vcc
	v_mul_lo_u32 v10, v5, v13
	v_lshl_add_u64 v[8:9], v[8:9], 0, v[10:11]
	v_add_co_u32_e32 v1, vcc, v1, v8
	v_mul_lo_u32 v10, s2, v1
	s_nop 0
	v_addc_co_u32_e32 v5, vcc, v5, v9, vcc
	v_mul_lo_u32 v8, s2, v5
	v_mul_hi_u32 v9, s2, v1
	v_add_u32_e32 v8, v9, v8
	v_mul_lo_u32 v9, s3, v1
	v_add_u32_e32 v12, v8, v9
	v_mul_hi_u32 v14, v5, v10
	v_mul_lo_u32 v15, v5, v10
	v_mul_hi_u32 v9, v1, v12
	v_mul_lo_u32 v8, v1, v12
	v_mul_hi_u32 v10, v1, v10
	v_mov_b32_e32 v11, v4
	v_lshl_add_u64 v[8:9], v[10:11], 0, v[8:9]
	v_add_co_u32_e32 v8, vcc, v8, v15
	v_mul_hi_u32 v13, v5, v12
	s_nop 0
	v_addc_co_u32_e32 v8, vcc, v9, v14, vcc
	v_mul_lo_u32 v10, v5, v12
	s_nop 0
	v_addc_co_u32_e32 v11, vcc, 0, v13, vcc
	v_mov_b32_e32 v9, v4
	v_lshl_add_u64 v[8:9], v[8:9], 0, v[10:11]
	v_add_co_u32_e32 v1, vcc, v1, v8
	v_mul_hi_u32 v10, v6, v1
	s_nop 0
	v_addc_co_u32_e32 v5, vcc, v5, v9, vcc
	v_mad_u64_u32 v[8:9], s[2:3], v6, v5, 0
	v_mov_b32_e32 v11, v4
	v_lshl_add_u64 v[8:9], v[10:11], 0, v[8:9]
	v_mad_u64_u32 v[12:13], s[2:3], v7, v1, 0
	v_add_co_u32_e32 v1, vcc, v8, v12
	v_mad_u64_u32 v[10:11], s[2:3], v7, v5, 0
	s_nop 0
	v_addc_co_u32_e32 v8, vcc, v9, v13, vcc
	v_mov_b32_e32 v9, v4
	s_nop 0
	v_addc_co_u32_e32 v11, vcc, 0, v11, vcc
	v_lshl_add_u64 v[8:9], v[8:9], 0, v[10:11]
	v_mul_lo_u32 v1, s19, v8
	v_mul_lo_u32 v5, s18, v9
	v_mad_u64_u32 v[10:11], s[2:3], s18, v8, 0
	v_add3_u32 v1, v11, v5, v1
	v_sub_u32_e32 v5, v7, v1
	v_mov_b32_e32 v11, s19
	v_sub_co_u32_e32 v14, vcc, v6, v10
	v_lshl_add_u64 v[12:13], v[8:9], 0, 1
	s_nop 0
	v_subb_co_u32_e64 v5, s[2:3], v5, v11, vcc
	v_subrev_co_u32_e64 v10, s[2:3], s18, v14
	v_subb_co_u32_e32 v1, vcc, v7, v1, vcc
	s_nop 0
	v_subbrev_co_u32_e64 v5, s[2:3], 0, v5, s[2:3]
	v_cmp_le_u32_e64 s[2:3], s19, v5
	v_cmp_le_u32_e32 vcc, s19, v1
	s_nop 0
	v_cndmask_b32_e64 v11, 0, -1, s[2:3]
	v_cmp_le_u32_e64 s[2:3], s18, v10
	s_nop 1
	v_cndmask_b32_e64 v10, 0, -1, s[2:3]
	v_cmp_eq_u32_e64 s[2:3], s19, v5
	s_nop 1
	v_cndmask_b32_e64 v5, v11, v10, s[2:3]
	v_lshl_add_u64 v[10:11], v[8:9], 0, 2
	v_cmp_ne_u32_e64 s[2:3], 0, v5
	s_nop 1
	v_cndmask_b32_e64 v5, v13, v11, s[2:3]
	v_cndmask_b32_e64 v11, 0, -1, vcc
	v_cmp_le_u32_e32 vcc, s18, v14
	s_nop 1
	v_cndmask_b32_e64 v13, 0, -1, vcc
	v_cmp_eq_u32_e32 vcc, s19, v1
	s_nop 1
	v_cndmask_b32_e32 v1, v11, v13, vcc
	v_cmp_ne_u32_e32 vcc, 0, v1
	v_cndmask_b32_e64 v1, v12, v10, s[2:3]
	s_nop 0
	v_cndmask_b32_e32 v9, v9, v5, vcc
	v_cndmask_b32_e32 v8, v8, v1, vcc
.LBB0_4:                                ;   in Loop: Header=BB0_2 Depth=1
	s_andn2_saveexec_b64 s[2:3], s[20:21]
	s_cbranch_execz .LBB0_6
; %bb.5:                                ;   in Loop: Header=BB0_2 Depth=1
	v_cvt_f32_u32_e32 v1, s18
	s_sub_i32 s20, 0, s18
	v_rcp_iflag_f32_e32 v1, v1
	s_nop 0
	v_mul_f32_e32 v1, 0x4f7ffffe, v1
	v_cvt_u32_f32_e32 v1, v1
	v_mul_lo_u32 v5, s20, v1
	v_mul_hi_u32 v5, v1, v5
	v_add_u32_e32 v1, v1, v5
	v_mul_hi_u32 v1, v6, v1
	v_mul_lo_u32 v5, v1, s18
	v_sub_u32_e32 v5, v6, v5
	v_add_u32_e32 v8, 1, v1
	v_subrev_u32_e32 v9, s18, v5
	v_cmp_le_u32_e32 vcc, s18, v5
	s_nop 1
	v_cndmask_b32_e32 v5, v5, v9, vcc
	v_cndmask_b32_e32 v1, v1, v8, vcc
	v_add_u32_e32 v8, 1, v1
	v_cmp_le_u32_e32 vcc, s18, v5
	v_mov_b32_e32 v9, v4
	s_nop 0
	v_cndmask_b32_e32 v8, v1, v8, vcc
.LBB0_6:                                ;   in Loop: Header=BB0_2 Depth=1
	s_or_b64 exec, exec, s[2:3]
	v_mad_u64_u32 v[10:11], s[2:3], v8, s18, 0
	s_load_dwordx2 s[2:3], s[12:13], 0x0
	v_mul_lo_u32 v1, v9, s18
	v_mul_lo_u32 v5, v8, s19
	v_add3_u32 v1, v11, v5, v1
	v_sub_co_u32_e32 v5, vcc, v6, v10
	s_add_u32 s14, s14, 1
	s_nop 0
	v_subb_co_u32_e32 v1, vcc, v7, v1, vcc
	s_addc_u32 s15, s15, 0
	s_waitcnt lgkmcnt(0)
	v_mul_lo_u32 v1, s2, v1
	v_mul_lo_u32 v6, s3, v5
	v_mad_u64_u32 v[2:3], s[2:3], s2, v5, v[2:3]
	s_add_u32 s12, s12, 8
	v_add3_u32 v3, v6, v3, v1
	s_addc_u32 s13, s13, 0
	v_mov_b64_e32 v[6:7], s[6:7]
	s_add_u32 s16, s16, 8
	v_cmp_ge_u64_e32 vcc, s[14:15], v[6:7]
	s_addc_u32 s17, s17, 0
	s_cbranch_vccnz .LBB0_9
; %bb.7:                                ;   in Loop: Header=BB0_2 Depth=1
	v_mov_b64_e32 v[6:7], v[8:9]
	s_branch .LBB0_2
.LBB0_8:
	v_mov_b64_e32 v[8:9], v[6:7]
.LBB0_9:
	s_lshl_b64 s[2:3], s[6:7], 3
	s_add_u32 s2, s10, s2
	s_addc_u32 s3, s11, s3
	s_load_dwordx2 s[6:7], s[2:3], 0x0
	s_load_dwordx2 s[10:11], s[0:1], 0x20
	s_mov_b32 s2, 0x1e1e1e2
	s_waitcnt lgkmcnt(0)
	v_mul_lo_u32 v1, s6, v9
	v_mul_lo_u32 v4, s7, v8
	v_mad_u64_u32 v[2:3], s[0:1], s6, v8, v[2:3]
	v_add3_u32 v3, v4, v3, v1
	v_mul_hi_u32 v1, v0, s2
	v_mul_u32_u24_e32 v1, 0x88, v1
	v_cmp_gt_u64_e64 s[0:1], s[10:11], v[8:9]
	v_sub_u32_e32 v0, v0, v1
	v_lshl_add_u64 v[2:3], v[2:3], 2, s[8:9]
	s_and_saveexec_b64 s[2:3], s[0:1]
	s_cbranch_execz .LBB0_13
; %bb.10:
	v_mov_b32_e32 v1, 0
	v_lshl_add_u64 v[4:5], v[0:1], 2, v[2:3]
	s_movk_i32 s6, 0x1000
	global_load_dword v6, v[4:5], off
	global_load_dword v7, v[4:5], off offset:544
	global_load_dword v8, v[4:5], off offset:1088
	;; [unrolled: 1-line block ×7, first 2 shown]
	v_add_co_u32_e32 v4, vcc, s6, v4
	s_movk_i32 s6, 0x87
	s_nop 0
	v_addc_co_u32_e32 v5, vcc, 0, v5, vcc
	global_load_dword v14, v[4:5], off offset:256
	global_load_dword v15, v[4:5], off offset:800
	;; [unrolled: 1-line block ×5, first 2 shown]
	v_lshl_add_u32 v4, v0, 2, 0
	v_cmp_eq_u32_e32 vcc, s6, v0
	v_add_u32_e32 v5, 0x400, v4
	v_add_u32_e32 v19, 0x800, v4
	;; [unrolled: 1-line block ×5, first 2 shown]
	s_waitcnt vmcnt(11)
	ds_write2_b32 v4, v6, v7 offset1:136
	s_waitcnt vmcnt(9)
	ds_write2_b32 v5, v8, v9 offset0:16 offset1:152
	s_waitcnt vmcnt(7)
	ds_write2_b32 v19, v10, v11 offset0:32 offset1:168
	;; [unrolled: 2-line block ×5, first 2 shown]
	s_waitcnt vmcnt(0)
	ds_write_b32 v4, v18 offset:6528
	s_and_saveexec_b64 s[6:7], vcc
	s_cbranch_execz .LBB0_12
; %bb.11:
	v_add_co_u32_e32 v4, vcc, 0x1000, v2
	s_nop 1
	v_addc_co_u32_e32 v5, vcc, 0, v3, vcc
	global_load_dword v0, v[4:5], off offset:2976
	s_waitcnt vmcnt(0)
	ds_write_b32 v1, v0 offset:7072
	v_mov_b32_e32 v0, 0x87
.LBB0_12:
	s_or_b64 exec, exec, s[6:7]
.LBB0_13:
	s_or_b64 exec, exec, s[2:3]
	v_lshlrev_b32_e32 v1, 2, v0
	v_add_u32_e32 v24, 0, v1
	s_waitcnt lgkmcnt(0)
	s_barrier
	v_sub_u32_e32 v6, 0, v1
	ds_read_u16 v9, v24
	ds_read_u16 v10, v6 offset:7072
	s_add_u32 s2, s4, 0x1b5c
	s_addc_u32 s3, s5, 0
	v_cmp_ne_u32_e32 vcc, 0, v0
                                        ; implicit-def: $vgpr4_vgpr5
	s_waitcnt lgkmcnt(0)
	v_add_f16_e32 v7, v10, v9
	v_sub_f16_e32 v8, v9, v10
	s_and_saveexec_b64 s[6:7], vcc
	s_xor_b64 s[6:7], exec, s[6:7]
	s_cbranch_execz .LBB0_15
; %bb.14:
	v_mov_b32_e32 v1, 0
	v_lshl_add_u64 v[4:5], v[0:1], 2, s[2:3]
	global_load_dword v4, v[4:5], off
	ds_read_u16 v5, v6 offset:7074
	ds_read_u16 v7, v24 offset:2
	v_add_f16_e32 v8, v10, v9
	v_sub_f16_e32 v9, v9, v10
	s_waitcnt lgkmcnt(0)
	v_add_f16_e32 v10, v5, v7
	v_sub_f16_e32 v5, v7, v5
	s_waitcnt vmcnt(0)
	v_lshrrev_b32_e32 v7, 16, v4
	v_fma_f16 v11, v9, v7, v8
	v_fma_f16 v12, v10, v7, v5
	v_fma_f16 v13, -v9, v7, v8
	v_fma_f16 v5, v10, v7, -v5
	v_fma_f16 v7, -v4, v10, v11
	v_fma_f16 v8, v9, v4, v12
	v_fma_f16 v10, v4, v10, v13
	;; [unrolled: 1-line block ×3, first 2 shown]
	v_pack_b32_f16 v4, v10, v4
	ds_write_b32 v6, v4 offset:7072
	v_mov_b64_e32 v[4:5], v[0:1]
.LBB0_15:
	s_andn2_saveexec_b64 s[6:7], s[6:7]
	s_cbranch_execz .LBB0_17
; %bb.16:
	v_mov_b32_e32 v1, 0
	ds_read_b32 v4, v1 offset:3536
	s_mov_b32 s8, 0xc0004000
	s_waitcnt lgkmcnt(0)
	v_pk_mul_f16 v4, v4, s8
	ds_write_b32 v1, v4 offset:3536
	v_mov_b64_e32 v[4:5], 0
.LBB0_17:
	s_or_b64 exec, exec, s[6:7]
	v_lshl_add_u64 v[4:5], v[4:5], 2, s[2:3]
	global_load_dword v1, v[4:5], off offset:544
	global_load_dword v9, v[4:5], off offset:1088
	;; [unrolled: 1-line block ×4, first 2 shown]
	s_mov_b32 s2, 0x5040100
	v_perm_b32 v7, v8, v7, s2
	ds_write_b32 v24, v7
	ds_read_b32 v7, v24 offset:544
	ds_read_b32 v8, v6 offset:6528
	global_load_dword v12, v[4:5], off offset:2720
	s_movk_i32 s2, 0x44
	v_cmp_gt_u32_e32 vcc, s2, v0
	s_waitcnt lgkmcnt(0)
	v_add_f16_e32 v13, v7, v8
	v_add_f16_sdwa v14, v8, v7 dst_sel:DWORD dst_unused:UNUSED_PAD src0_sel:WORD_1 src1_sel:WORD_1
	v_sub_f16_e32 v15, v7, v8
	v_sub_f16_sdwa v7, v7, v8 dst_sel:DWORD dst_unused:UNUSED_PAD src0_sel:WORD_1 src1_sel:WORD_1
	s_waitcnt vmcnt(4)
	v_lshrrev_b32_e32 v8, 16, v1
	v_fma_f16 v16, v15, v8, v13
	v_fma_f16 v17, v14, v8, v7
	v_fma_f16 v13, -v15, v8, v13
	v_fma_f16 v7, v14, v8, -v7
	v_fma_f16 v8, -v1, v14, v16
	v_fma_f16 v16, v15, v1, v17
	v_fma_f16 v13, v1, v14, v13
	v_fma_f16 v1, v15, v1, v7
	v_pack_b32_f16 v7, v8, v16
	v_pack_b32_f16 v1, v13, v1
	ds_write_b32 v24, v7 offset:544
	ds_write_b32 v6, v1 offset:6528
	ds_read_b32 v1, v24 offset:1088
	ds_read_b32 v7, v6 offset:5984
	s_waitcnt vmcnt(3)
	v_lshrrev_b32_e32 v8, 16, v9
	s_waitcnt lgkmcnt(0)
	v_add_f16_e32 v13, v1, v7
	v_add_f16_sdwa v14, v7, v1 dst_sel:DWORD dst_unused:UNUSED_PAD src0_sel:WORD_1 src1_sel:WORD_1
	v_sub_f16_e32 v15, v1, v7
	v_sub_f16_sdwa v1, v1, v7 dst_sel:DWORD dst_unused:UNUSED_PAD src0_sel:WORD_1 src1_sel:WORD_1
	v_fma_f16 v7, v15, v8, v13
	v_fma_f16 v16, v14, v8, v1
	v_fma_f16 v13, -v15, v8, v13
	v_fma_f16 v1, v14, v8, -v1
	v_fma_f16 v7, -v9, v14, v7
	v_fma_f16 v8, v15, v9, v16
	v_fma_f16 v13, v9, v14, v13
	v_fma_f16 v1, v15, v9, v1
	v_pack_b32_f16 v7, v7, v8
	v_pack_b32_f16 v1, v13, v1
	ds_write_b32 v24, v7 offset:1088
	ds_write_b32 v6, v1 offset:5984
	ds_read_b32 v1, v24 offset:1632
	ds_read_b32 v7, v6 offset:5440
	s_waitcnt vmcnt(2)
	v_lshrrev_b32_e32 v8, 16, v10
	s_waitcnt lgkmcnt(0)
	v_add_f16_e32 v9, v1, v7
	v_add_f16_sdwa v13, v7, v1 dst_sel:DWORD dst_unused:UNUSED_PAD src0_sel:WORD_1 src1_sel:WORD_1
	v_sub_f16_e32 v14, v1, v7
	v_sub_f16_sdwa v1, v1, v7 dst_sel:DWORD dst_unused:UNUSED_PAD src0_sel:WORD_1 src1_sel:WORD_1
	;; [unrolled: 21-line block ×4, first 2 shown]
	v_fma_f16 v7, v11, v8, v9
	v_fma_f16 v13, v10, v8, v1
	v_fma_f16 v9, -v11, v8, v9
	v_fma_f16 v1, v10, v8, -v1
	v_fma_f16 v7, -v12, v10, v7
	v_fma_f16 v8, v11, v12, v13
	v_fma_f16 v9, v12, v10, v9
	v_fma_f16 v1, v11, v12, v1
	v_pack_b32_f16 v7, v7, v8
	v_pack_b32_f16 v1, v9, v1
	ds_write_b32 v24, v7 offset:2720
	ds_write_b32 v6, v1 offset:4352
	s_and_saveexec_b64 s[2:3], vcc
	s_cbranch_execz .LBB0_19
; %bb.18:
	global_load_dword v1, v[4:5], off offset:3264
	ds_read_b32 v4, v24 offset:3264
	ds_read_b32 v5, v6 offset:3808
	s_waitcnt lgkmcnt(0)
	v_add_f16_e32 v7, v4, v5
	v_add_f16_sdwa v8, v5, v4 dst_sel:DWORD dst_unused:UNUSED_PAD src0_sel:WORD_1 src1_sel:WORD_1
	v_sub_f16_e32 v9, v4, v5
	v_sub_f16_sdwa v4, v4, v5 dst_sel:DWORD dst_unused:UNUSED_PAD src0_sel:WORD_1 src1_sel:WORD_1
	s_waitcnt vmcnt(0)
	v_lshrrev_b32_e32 v5, 16, v1
	v_fma_f16 v10, v9, v5, v7
	v_fma_f16 v11, v8, v5, v4
	v_fma_f16 v7, -v9, v5, v7
	v_fma_f16 v4, v8, v5, -v4
	v_fma_f16 v5, -v1, v8, v10
	v_fma_f16 v10, v9, v1, v11
	v_fma_f16 v7, v1, v8, v7
	;; [unrolled: 1-line block ×3, first 2 shown]
	v_pack_b32_f16 v4, v5, v10
	v_pack_b32_f16 v1, v7, v1
	ds_write_b32 v24, v4 offset:3264
	ds_write_b32 v6, v1 offset:3808
.LBB0_19:
	s_or_b64 exec, exec, s[2:3]
	v_add_u32_e32 v1, 0x200, v24
	s_waitcnt lgkmcnt(0)
	s_barrier
	s_barrier
	ds_read2_b32 v[10:11], v1 offset0:80 offset1:184
	v_add_u32_e32 v1, 0x600, v24
	ds_read2_b32 v[12:13], v1 offset0:32 offset1:136
	v_add_u32_e32 v6, 0x800, v24
	v_add_u32_e32 v27, 0xc00, v24
	;; [unrolled: 1-line block ×4, first 2 shown]
	ds_read2_b32 v[8:9], v24 offset1:104
	ds_read2_b32 v[14:15], v6 offset0:112 offset1:216
	ds_read2_b32 v[16:17], v27 offset0:64 offset1:168
	;; [unrolled: 1-line block ×3, first 2 shown]
	ds_read_b32 v30, v24 offset:6656
	ds_read2_b32 v[20:21], v1 offset0:96 offset1:200
	v_add_u32_e32 v1, 0x1600, v24
	ds_read2_b32 v[22:23], v1 offset0:48 offset1:152
	s_movk_i32 s6, 0x39e9
	s_waitcnt lgkmcnt(2)
	v_sub_f16_sdwa v35, v9, v30 dst_sel:DWORD dst_unused:UNUSED_PAD src0_sel:WORD_1 src1_sel:WORD_1
	v_add_f16_e32 v29, v30, v9
	v_mul_f16_e32 v38, 0xb964, v35
	s_waitcnt lgkmcnt(0)
	v_sub_f16_sdwa v37, v10, v23 dst_sel:DWORD dst_unused:UNUSED_PAD src0_sel:WORD_1 src1_sel:WORD_1
	v_fma_f16 v1, v29, s6, v38
	s_movk_i32 s7, 0x3722
	v_mul_f16_e32 v44, 0xbb29, v35
	s_movk_i32 s8, 0x2de8
	v_add_f16_e32 v32, v23, v10
	v_mul_f16_e32 v42, 0xbbf7, v37
	v_add_f16_e32 v1, v8, v1
	v_fma_f16 v4, v29, s7, v44
	v_fma_f16 v5, v32, s8, v42
	s_mov_b32 s9, 0xb8d2
	v_mul_f16_e32 v48, 0xba62, v37
	v_sub_f16_sdwa v40, v11, v22 dst_sel:DWORD dst_unused:UNUSED_PAD src0_sel:WORD_1 src1_sel:WORD_1
	v_add_f16_e32 v4, v8, v4
	v_add_f16_e32 v1, v5, v1
	v_fma_f16 v5, v32, s9, v48
	v_add_f16_e32 v33, v22, v11
	v_mul_f16_e32 v46, 0xba62, v40
	v_add_f16_e32 v4, v5, v4
	s_mov_b32 s10, 0xbbdd
	v_fma_f16 v5, v33, s9, v46
	v_mul_f16_e32 v51, 0x31e1, v40
	v_sub_f16_sdwa v43, v12, v21 dst_sel:DWORD dst_unused:UNUSED_PAD src0_sel:WORD_1 src1_sel:WORD_1
	v_add_f16_e32 v1, v5, v1
	v_fma_f16 v5, v33, s10, v51
	v_add_f16_e32 v34, v21, v12
	v_mul_f16_e32 v50, 0xb1e1, v43
	v_add_f16_e32 v4, v5, v4
	s_mov_b32 s11, 0xb461
	v_fma_f16 v5, v34, s10, v50
	v_mul_f16_e32 v55, 0x3bb2, v43
	v_sub_f16_sdwa v47, v13, v20 dst_sel:DWORD dst_unused:UNUSED_PAD src0_sel:WORD_1 src1_sel:WORD_1
	v_add_f16_e32 v1, v5, v1
	v_fma_f16 v5, v34, s11, v55
	v_add_f16_e32 v36, v20, v13
	s_mov_b32 s13, 0xbacd
	v_mul_f16_e32 v54, 0x3836, v47
	v_add_f16_e32 v4, v5, v4
	v_fma_f16 v5, v36, s13, v54
	v_mul_f16_e32 v60, 0x3964, v47
	v_sub_f16_sdwa v49, v14, v19 dst_sel:DWORD dst_unused:UNUSED_PAD src0_sel:WORD_1 src1_sel:WORD_1
	v_add_f16_e32 v1, v5, v1
	v_fma_f16 v5, v36, s6, v60
	v_add_f16_e32 v39, v19, v14
	v_mul_f16_e32 v58, 0x3bb2, v49
	s_movk_i32 s12, 0x3b76
	v_add_f16_e32 v4, v5, v4
	v_fma_f16 v5, v39, s11, v58
	v_mul_f16_e32 v64, 0xb5c8, v49
	v_sub_f16_sdwa v53, v15, v18 dst_sel:DWORD dst_unused:UNUSED_PAD src0_sel:WORD_1 src1_sel:WORD_1
	v_add_f16_e32 v1, v5, v1
	v_fma_f16 v5, v39, s12, v64
	v_add_f16_e32 v41, v18, v15
	v_mul_f16_e32 v62, 0x3b29, v53
	v_add_f16_e32 v4, v5, v4
	v_fma_f16 v5, v41, s7, v62
	v_mul_f16_e32 v70, 0xbbf7, v53
	v_sub_f16_sdwa v57, v16, v17 dst_sel:DWORD dst_unused:UNUSED_PAD src0_sel:WORD_1 src1_sel:WORD_1
	v_add_f16_e32 v1, v5, v1
	v_fma_f16 v5, v41, s8, v70
	v_add_f16_e32 v45, v17, v16
	v_mul_f16_e32 v66, 0x35c8, v57
	v_add_f16_e32 v4, v5, v4
	v_fma_f16 v5, v45, s12, v66
	v_mul_f16_e32 v72, 0xb836, v57
	v_sub_f16_e32 v67, v9, v30
	v_add_f16_sdwa v31, v30, v9 dst_sel:DWORD dst_unused:UNUSED_PAD src0_sel:WORD_1 src1_sel:WORD_1
	v_add_f16_e32 v5, v5, v1
	v_fma_f16 v1, v45, s13, v72
	v_mul_f16_e32 v73, 0xb964, v67
	v_sub_f16_e32 v68, v10, v23
	v_add_f16_e32 v4, v1, v4
	v_fma_f16 v1, v31, s6, -v73
	v_add_f16_sdwa v52, v23, v10 dst_sel:DWORD dst_unused:UNUSED_PAD src0_sel:WORD_1 src1_sel:WORD_1
	v_mul_f16_e32 v75, 0xbbf7, v68
	v_add_f16_sdwa v1, v8, v1 dst_sel:DWORD dst_unused:UNUSED_PAD src0_sel:WORD_1 src1_sel:DWORD
	v_fma_f16 v7, v52, s8, -v75
	v_mul_f16_e32 v84, 0xbb29, v67
	v_add_f16_e32 v1, v7, v1
	v_fma_f16 v7, v31, s7, -v84
	v_mul_f16_e32 v85, 0xba62, v68
	v_add_f16_sdwa v7, v8, v7 dst_sel:DWORD dst_unused:UNUSED_PAD src0_sel:WORD_1 src1_sel:DWORD
	v_fma_f16 v25, v52, s9, -v85
	v_mul_f16_e32 v93, 0xbbf7, v35
	v_add_f16_e32 v7, v25, v7
	v_fma_f16 v25, v29, s8, v93
	v_mul_f16_e32 v94, 0xb1e1, v37
	v_add_f16_e32 v25, v8, v25
	v_fma_f16 v26, v32, s10, v94
	v_mul_f16_e32 v102, 0xbbf7, v67
	v_add_f16_e32 v25, v26, v25
	v_fma_f16 v26, v31, s8, -v102
	v_mul_f16_e32 v103, 0xb1e1, v68
	v_add_f16_sdwa v26, v8, v26 dst_sel:DWORD dst_unused:UNUSED_PAD src0_sel:WORD_1 src1_sel:DWORD
	v_fma_f16 v56, v52, s10, -v103
	v_sub_f16_e32 v71, v11, v22
	v_add_f16_e32 v26, v56, v26
	v_add_f16_sdwa v56, v22, v11 dst_sel:DWORD dst_unused:UNUSED_PAD src0_sel:WORD_1 src1_sel:WORD_1
	v_mul_f16_e32 v78, 0xba62, v71
	v_fma_f16 v59, v56, s9, -v78
	v_mul_f16_e32 v88, 0x31e1, v71
	v_add_f16_e32 v1, v59, v1
	v_fma_f16 v59, v56, s10, -v88
	v_mul_f16_e32 v97, 0x3bb2, v40
	v_add_f16_e32 v7, v59, v7
	v_fma_f16 v59, v33, s11, v97
	v_mul_f16_e32 v105, 0x3bb2, v71
	v_add_f16_e32 v25, v59, v25
	v_fma_f16 v59, v56, s11, -v105
	v_sub_f16_e32 v74, v12, v21
	v_add_f16_e32 v26, v59, v26
	v_add_f16_sdwa v59, v21, v12 dst_sel:DWORD dst_unused:UNUSED_PAD src0_sel:WORD_1 src1_sel:WORD_1
	v_mul_f16_e32 v80, 0xb1e1, v74
	v_fma_f16 v61, v59, s10, -v80
	v_mul_f16_e32 v90, 0x3bb2, v74
	v_add_f16_e32 v1, v61, v1
	v_fma_f16 v61, v59, s11, -v90
	v_mul_f16_e32 v99, 0x35c8, v43
	v_add_f16_e32 v7, v61, v7
	v_fma_f16 v61, v34, s12, v99
	v_mul_f16_e32 v107, 0x35c8, v74
	v_add_f16_e32 v25, v61, v25
	;; [unrolled: 14-line block ×4, first 2 shown]
	v_fma_f16 v65, v63, s13, -v109
	v_sub_f16_e32 v79, v15, v18
	v_add_f16_e32 v26, v65, v26
	v_add_f16_sdwa v65, v18, v15 dst_sel:DWORD dst_unused:UNUSED_PAD src0_sel:WORD_1 src1_sel:WORD_1
	v_mul_f16_e32 v89, 0x3b29, v79
	v_fma_f16 v69, v65, s7, -v89
	v_mul_f16_e32 v98, 0xbbf7, v79
	v_add_f16_e32 v1, v69, v1
	v_fma_f16 v69, v65, s8, -v98
	v_mul_f16_e32 v106, 0x3a62, v53
	v_add_f16_e32 v7, v69, v7
	v_fma_f16 v69, v41, s9, v106
	v_mul_f16_e32 v111, 0x3a62, v79
	v_sub_f16_e32 v81, v16, v17
	v_add_f16_e32 v82, v69, v25
	v_fma_f16 v25, v65, s9, -v111
	v_add_f16_sdwa v69, v17, v16 dst_sel:DWORD dst_unused:UNUSED_PAD src0_sel:WORD_1 src1_sel:WORD_1
	v_mul_f16_e32 v91, 0x35c8, v81
	v_add_f16_e32 v25, v25, v26
	v_fma_f16 v26, v69, s12, -v91
	v_mul_f16_e32 v100, 0xb836, v81
	v_add_f16_e32 v1, v26, v1
	v_fma_f16 v26, v69, s13, -v100
	v_mul_f16_e32 v112, 0x3964, v81
	v_add_f16_e32 v26, v26, v7
	v_fma_f16 v7, v69, s6, -v112
	v_mul_f16_e32 v110, 0x3964, v57
	v_add_f16_e32 v25, v7, v25
	v_fma_f16 v7, v45, s6, v110
	s_movk_i32 s2, 0x68
	s_mov_b32 s20, 0xb964
	s_mov_b32 s15, 0xbb29
	;; [unrolled: 1-line block ×5, first 2 shown]
	s_movk_i32 s28, 0x31e1
	s_movk_i32 s22, 0x3bb2
	s_movk_i32 s26, 0x35c8
	s_movk_i32 s19, 0x3836
	s_movk_i32 s18, 0x3964
	s_mov_b32 s17, 0xb5c8
	s_mov_b32 s23, 0xb836
	s_movk_i32 s21, 0x3b29
	s_movk_i32 s25, 0x3a62
	v_add_f16_e32 v7, v7, v82
	v_cmp_gt_u32_e32 vcc, s2, v0
	s_barrier
	s_and_saveexec_b64 s[2:3], vcc
	s_cbranch_execz .LBB0_21
; %bb.20:
	v_mul_f16_e32 v113, 0xb461, v31
	v_fma_f16 v82, v67, s22, v113
	v_mul_f16_e32 v114, 0xbacd, v52
	v_add_f16_sdwa v82, v8, v82 dst_sel:DWORD dst_unused:UNUSED_PAD src0_sel:WORD_1 src1_sel:DWORD
	v_fma_f16 v87, v68, s23, v114
	v_mul_f16_e32 v115, 0x39e9, v56
	v_add_f16_e32 v82, v87, v82
	v_fma_f16 v87, v71, s20, v115
	v_mul_f16_e32 v116, 0x3722, v59
	v_add_f16_e32 v82, v87, v82
	;; [unrolled: 3-line block ×15, first 2 shown]
	s_mov_b32 s27, 0xbbb2
	v_fma_f16 v95, v67, s25, v129
	v_mul_f16_e32 v130, 0xb461, v52
	v_add_f16_sdwa v95, v8, v95 dst_sel:DWORD dst_unused:UNUSED_PAD src0_sel:WORD_1 src1_sel:DWORD
	v_fma_f16 v131, v68, s27, v130
	v_add_f16_e32 v95, v131, v95
	v_mul_f16_e32 v131, 0x3b76, v56
	v_fma_f16 v132, v71, s26, v131
	v_add_f16_e32 v95, v132, v95
	v_mul_f16_e32 v132, 0xbacd, v59
	;; [unrolled: 3-line block ×6, first 2 shown]
	v_fma_f16 v137, v81, s15, v136
	v_fma_f16 v113, v67, s27, v113
	v_add_f16_e32 v95, v137, v95
	v_mul_f16_e32 v137, 0xba62, v35
	v_add_f16_sdwa v113, v8, v113 dst_sel:DWORD dst_unused:UNUSED_PAD src0_sel:WORD_1 src1_sel:DWORD
	v_fma_f16 v114, v68, s19, v114
	v_fma_f16 v138, v29, s9, v137
	v_mul_f16_e32 v139, 0x3bb2, v37
	v_add_f16_e32 v113, v114, v113
	v_fma_f16 v114, v71, s18, v115
	v_add_f16_e32 v138, v8, v138
	v_fma_f16 v140, v32, s11, v139
	;; [unrolled: 2-line block ×3, first 2 shown]
	v_add_f16_e32 v138, v140, v138
	v_mul_f16_e32 v140, 0xb5c8, v40
	s_movk_i32 s29, 0x3bf7
	v_add_f16_e32 v113, v114, v113
	v_fma_f16 v114, v76, s16, v117
	v_fma_f16 v141, v33, s12, v140
	v_add_f16_e32 v113, v114, v113
	v_fma_f16 v114, v77, s29, v118
	v_add_f16_e32 v138, v141, v138
	v_mul_f16_e32 v141, 0xb836, v43
	v_add_f16_e32 v113, v114, v113
	v_fma_f16 v114, v79, s17, v119
	v_fma_f16 v142, v34, s13, v141
	v_add_f16_e32 v113, v114, v113
	v_fma_f16 v114, v81, s14, v120
	v_add_f16_e32 v138, v142, v138
	v_mul_f16_e32 v142, 0x3bf7, v47
	v_add_f16_e32 v113, v114, v113
	v_fma_f16 v114, v29, s11, -v121
	v_fma_f16 v143, v36, s8, v142
	v_add_f16_e32 v114, v8, v114
	v_fma_f16 v115, v32, s13, -v122
	v_add_f16_e32 v138, v143, v138
	v_mul_f16_e32 v143, 0xb964, v49
	v_add_f16_e32 v114, v115, v114
	v_fma_f16 v115, v33, s6, -v123
	v_fma_f16 v144, v39, s6, v143
	v_add_f16_e32 v114, v115, v114
	v_fma_f16 v115, v34, s7, -v124
	;; [unrolled: 7-line block ×4, first 2 shown]
	v_add_f16_e32 v138, v146, v138
	v_mul_f16_e32 v146, 0xbacd, v31
	v_add_f16_e32 v114, v116, v114
	v_mul_f16_e32 v116, 0x2de8, v31
	v_fma_f16 v147, v67, s19, v146
	v_mul_f16_e32 v148, 0x3722, v52
	v_add_f16_e32 v102, v102, v116
	v_mul_f16_e32 v116, 0xbbdd, v52
	v_add_f16_sdwa v147, v8, v147 dst_sel:DWORD dst_unused:UNUSED_PAD src0_sel:WORD_1 src1_sel:DWORD
	v_fma_f16 v149, v68, s15, v148
	v_add_f16_e32 v103, v103, v116
	v_add_f16_sdwa v102, v8, v102 dst_sel:DWORD dst_unused:UNUSED_PAD src0_sel:WORD_1 src1_sel:DWORD
	v_add_f16_e32 v147, v149, v147
	v_mul_f16_e32 v149, 0x2de8, v56
	v_add_f16_e32 v102, v103, v102
	v_mul_f16_e32 v103, 0xb461, v56
	v_fma_f16 v150, v71, s29, v149
	v_add_f16_e32 v103, v105, v103
	v_add_f16_e32 v147, v150, v147
	v_mul_f16_e32 v150, 0xb8d2, v59
	v_add_f16_e32 v102, v103, v102
	v_mul_f16_e32 v103, 0x3b76, v59
	v_fma_f16 v151, v74, s14, v150
	v_add_f16_e32 v103, v107, v103
	;; [unrolled: 6-line block ×3, first 2 shown]
	v_mul_f16_e32 v108, 0x2de8, v29
	v_add_f16_e32 v147, v152, v147
	v_mul_f16_e32 v152, 0xbbdd, v63
	v_sub_f16_e32 v93, v108, v93
	v_mul_f16_e32 v108, 0xbbdd, v32
	v_fma_f16 v153, v77, s28, v152
	v_sub_f16_e32 v94, v108, v94
	v_add_f16_e32 v93, v8, v93
	v_add_f16_e32 v147, v153, v147
	v_mul_f16_e32 v153, 0x39e9, v65
	v_add_f16_e32 v93, v94, v93
	v_mul_f16_e32 v94, 0xb461, v33
	v_fma_f16 v154, v79, s20, v153
	v_sub_f16_e32 v94, v94, v97
	v_add_f16_e32 v147, v154, v147
	v_mul_f16_e32 v154, 0xb461, v69
	v_add_f16_e32 v93, v94, v93
	v_mul_f16_e32 v94, 0x3b76, v34
	v_fma_f16 v155, v81, s22, v154
	v_sub_f16_e32 v94, v94, v99
	v_add_f16_e32 v147, v155, v147
	v_mul_f16_e32 v155, 0xb836, v35
	v_add_f16_e32 v102, v103, v102
	v_mul_f16_e32 v103, 0xbacd, v63
	;; [unrolled: 2-line block ×3, first 2 shown]
	v_fma_f16 v156, v29, s13, v155
	v_mul_f16_e32 v157, 0x3b29, v37
	v_add_f16_e32 v103, v109, v103
	v_sub_f16_e32 v94, v94, v101
	v_add_f16_e32 v156, v8, v156
	v_fma_f16 v158, v32, s7, v157
	v_add_f16_e32 v102, v103, v102
	v_mul_f16_e32 v103, 0xb8d2, v65
	v_add_f16_e32 v93, v94, v93
	v_mul_f16_e32 v94, 0xbacd, v39
	;; [unrolled: 2-line block ×3, first 2 shown]
	v_add_f16_e32 v103, v111, v103
	v_sub_f16_e32 v94, v94, v104
	v_fma_f16 v159, v33, s8, v158
	v_add_f16_e32 v102, v103, v102
	v_mul_f16_e32 v103, 0x39e9, v69
	v_add_f16_e32 v93, v94, v93
	v_mul_f16_e32 v94, 0xb8d2, v41
	;; [unrolled: 2-line block ×3, first 2 shown]
	v_mul_f16_e32 v107, 0x3722, v31
	v_add_f16_e32 v103, v112, v103
	v_sub_f16_e32 v94, v94, v106
	v_fma_f16 v160, v34, s9, v159
	v_add_f16_e32 v102, v103, v102
	v_mul_f16_e32 v103, 0xb8d2, v52
	v_add_f16_e32 v93, v94, v93
	v_mul_f16_e32 v94, 0x39e9, v45
	v_add_f16_e32 v84, v84, v107
	v_add_f16_e32 v156, v160, v156
	v_mul_f16_e32 v160, 0xb5c8, v47
	v_mul_f16_e32 v105, 0x3722, v29
	;; [unrolled: 1-line block ×3, first 2 shown]
	v_sub_f16_e32 v94, v94, v110
	v_add_f16_e32 v85, v85, v103
	v_add_f16_sdwa v84, v8, v84 dst_sel:DWORD dst_unused:UNUSED_PAD src0_sel:WORD_1 src1_sel:DWORD
	v_fma_f16 v161, v36, s12, v160
	v_mul_f16_e32 v112, 0xb8d2, v32
	v_add_f16_e32 v93, v94, v93
	v_mul_f16_e32 v94, 0xb461, v59
	v_add_f16_e32 v84, v85, v84
	v_add_f16_e32 v88, v88, v101
	v_sub_f16_e32 v44, v105, v44
	v_add_f16_e32 v156, v161, v156
	v_mul_f16_e32 v161, 0xb1e1, v49
	v_mul_f16_e32 v99, 0xbbdd, v33
	;; [unrolled: 1-line block ×3, first 2 shown]
	v_add_f16_e32 v84, v88, v84
	v_add_f16_e32 v90, v90, v94
	;; [unrolled: 1-line block ×3, first 2 shown]
	v_sub_f16_e32 v48, v112, v48
	v_fma_f16 v162, v39, s10, v161
	v_mul_f16_e32 v110, 0xb461, v34
	v_add_f16_e32 v84, v90, v84
	v_add_f16_e32 v92, v92, v101
	v_mul_f16_e32 v101, 0x3b76, v63
	v_add_f16_e32 v44, v48, v44
	v_sub_f16_e32 v48, v99, v51
	v_add_f16_e32 v156, v162, v156
	v_mul_f16_e32 v162, 0x3964, v53
	v_mul_f16_e32 v85, 0x39e9, v36
	v_add_f16_e32 v84, v92, v84
	v_add_f16_e32 v96, v96, v101
	;; [unrolled: 1-line block ×3, first 2 shown]
	v_sub_f16_e32 v48, v110, v55
	v_fma_f16 v163, v41, s6, v162
	v_mul_f16_e32 v90, 0x3b76, v39
	v_add_f16_e32 v84, v96, v84
	v_mul_f16_e32 v96, 0x2de8, v65
	v_add_f16_e32 v44, v48, v44
	v_sub_f16_e32 v48, v85, v60
	v_add_f16_e32 v156, v163, v156
	v_mul_f16_e32 v163, 0xbbb2, v57
	v_mul_f16_e32 v115, 0x39e9, v29
	v_add_f16_e32 v96, v98, v96
	v_mul_f16_e32 v98, 0x2de8, v41
	v_add_f16_e32 v44, v48, v44
	v_sub_f16_e32 v48, v90, v64
	v_fma_f16 v164, v45, s11, v163
	v_mul_f16_e32 v109, 0x2de8, v32
	v_mul_f16_e32 v105, 0xbacd, v45
	v_add_f16_e32 v44, v48, v44
	v_sub_f16_e32 v48, v98, v70
	v_sub_f16_e32 v38, v115, v38
	v_add_f16_e32 v156, v164, v156
	v_mul_f16_e32 v164, 0xbbdd, v31
	v_mul_f16_e32 v116, 0x39e9, v31
	;; [unrolled: 1-line block ×3, first 2 shown]
	v_add_f16_e32 v44, v48, v44
	v_sub_f16_e32 v48, v105, v72
	v_add_f16_e32 v38, v8, v38
	v_sub_f16_e32 v42, v109, v42
	v_fma_f16 v165, v67, s28, v164
	v_mul_f16_e32 v166, 0x3b76, v52
	v_mul_f16_e32 v111, 0x2de8, v52
	;; [unrolled: 1-line block ×3, first 2 shown]
	v_add_f16_e32 v44, v48, v44
	v_add_f16_e32 v48, v73, v116
	;; [unrolled: 1-line block ×3, first 2 shown]
	v_sub_f16_e32 v42, v108, v46
	v_add_f16_sdwa v165, v8, v165 dst_sel:DWORD dst_unused:UNUSED_PAD src0_sel:WORD_1 src1_sel:DWORD
	v_fma_f16 v167, v68, s17, v166
	v_mul_f16_e32 v97, 0xb8d2, v56
	v_mul_f16_e32 v107, 0xbacd, v36
	v_add_f16_sdwa v48, v8, v48 dst_sel:DWORD dst_unused:UNUSED_PAD src0_sel:WORD_1 src1_sel:DWORD
	v_add_f16_e32 v51, v75, v111
	v_add_f16_e32 v38, v42, v38
	v_sub_f16_e32 v42, v104, v50
	v_add_f16_e32 v165, v167, v165
	v_mul_f16_e32 v167, 0xbacd, v56
	v_mul_f16_e32 v106, 0xbbdd, v59
	;; [unrolled: 1-line block ×3, first 2 shown]
	v_add_f16_e32 v48, v51, v48
	v_add_f16_e32 v51, v78, v97
	;; [unrolled: 1-line block ×3, first 2 shown]
	v_sub_f16_e32 v42, v107, v54
	v_fma_f16 v168, v71, s19, v167
	v_mul_f16_e32 v103, 0xbacd, v61
	v_mul_f16_e32 v92, 0x3722, v41
	v_add_f16_e32 v84, v96, v84
	v_mul_f16_e32 v96, 0xbacd, v69
	v_add_f16_e32 v48, v51, v48
	v_add_f16_e32 v51, v80, v106
	v_add_f16_e32 v38, v42, v38
	v_sub_f16_e32 v42, v88, v58
	v_add_f16_e32 v165, v168, v165
	v_mul_f16_e32 v168, 0x39e9, v59
	v_mul_f16_e32 v94, 0xb461, v63
	v_add_f16_e32 v96, v100, v96
	v_mul_f16_e32 v100, 0x3b76, v45
	v_add_f16_e32 v48, v51, v48
	v_add_f16_e32 v51, v83, v103
	;; [unrolled: 1-line block ×3, first 2 shown]
	v_sub_f16_e32 v42, v92, v62
	v_fma_f16 v169, v74, s20, v168
	v_mul_f16_e32 v101, 0x3722, v65
	v_add_f16_e32 v48, v51, v48
	v_add_f16_e32 v51, v86, v94
	;; [unrolled: 1-line block ×3, first 2 shown]
	v_sub_f16_e32 v42, v100, v66
	v_add_f16_e32 v165, v169, v165
	v_mul_f16_e32 v169, 0xb8d2, v61
	v_add_f16_e32 v84, v96, v84
	v_mul_f16_e32 v96, 0x3b76, v69
	v_add_f16_e32 v48, v51, v48
	v_add_f16_e32 v51, v89, v101
	v_add_f16_e32 v38, v42, v38
	v_mul_f16_e32 v42, 0xb5c8, v67
	v_fma_f16 v170, v76, s25, v169
	v_add_f16_e32 v48, v51, v48
	v_add_f16_e32 v51, v91, v96
	v_fma_f16 v46, v31, s12, v42
	v_mul_f16_e32 v50, 0xb964, v68
	v_add_f16_e32 v165, v170, v165
	v_mul_f16_e32 v170, 0x3722, v63
	v_add_f16_e32 v48, v51, v48
	v_add_f16_sdwa v46, v8, v46 dst_sel:DWORD dst_unused:UNUSED_PAD src0_sel:WORD_1 src1_sel:DWORD
	v_fma_f16 v51, v52, s6, v50
	v_fma_f16 v171, v77, s15, v170
	v_add_f16_e32 v46, v51, v46
	v_mul_f16_e32 v51, 0xbb29, v71
	v_add_f16_e32 v165, v171, v165
	v_mul_f16_e32 v171, 0xb461, v65
	v_fma_f16 v54, v56, s7, v51
	v_fma_f16 v172, v79, s22, v171
	v_add_f16_e32 v46, v54, v46
	v_mul_f16_e32 v54, 0xbbf7, v74
	v_add_f16_e32 v165, v172, v165
	v_mul_f16_e32 v172, 0x2de8, v69
	;; [unrolled: 6-line block ×3, first 2 shown]
	v_fma_f16 v58, v61, s11, v55
	v_fma_f16 v174, v29, s10, v173
	v_mul_f16_e32 v175, 0x35c8, v37
	v_add_f16_e32 v46, v58, v46
	v_mul_f16_e32 v58, 0xba62, v77
	v_add_f16_e32 v174, v8, v174
	v_fma_f16 v176, v32, s12, v175
	v_fma_f16 v60, v63, s9, v58
	v_add_f16_e32 v174, v176, v174
	v_mul_f16_e32 v176, 0xb836, v40
	v_add_f16_e32 v46, v60, v46
	v_mul_f16_e32 v60, 0xb836, v79
	v_fma_f16 v177, v33, s13, v176
	v_fma_f16 v62, v65, s13, v60
	v_add_f16_e32 v174, v177, v174
	v_mul_f16_e32 v177, 0x3964, v43
	v_add_f16_e32 v46, v62, v46
	v_mul_f16_e32 v62, 0xb1e1, v81
	v_fma_f16 v178, v34, s6, v177
	v_fma_f16 v64, v69, s10, v62
	v_mul_f16_e32 v35, 0xb5c8, v35
	v_add_f16_e32 v174, v178, v174
	v_mul_f16_e32 v178, 0xba62, v47
	v_add_f16_e32 v46, v64, v46
	v_fma_f16 v64, v29, s12, -v35
	v_mul_f16_e32 v37, 0xb964, v37
	v_fma_f16 v179, v36, s9, v178
	v_add_f16_e32 v64, v8, v64
	v_fma_f16 v66, v32, s6, -v37
	v_mul_f16_e32 v40, 0xbb29, v40
	v_add_f16_e32 v174, v179, v174
	v_mul_f16_e32 v179, 0x3b29, v49
	v_add_f16_e32 v64, v66, v64
	v_fma_f16 v66, v33, s7, -v40
	v_mul_f16_e32 v43, 0xbbf7, v43
	v_fma_f16 v180, v39, s7, v179
	v_add_f16_e32 v64, v66, v64
	v_fma_f16 v66, v34, s8, -v43
	;; [unrolled: 9-line block ×3, first 2 shown]
	v_mul_f16_e32 v53, 0xb836, v53
	v_add_f16_e32 v174, v181, v174
	v_mul_f16_e32 v181, 0x3bf7, v57
	v_add_f16_e32 v64, v66, v64
	v_fma_f16 v66, v41, s13, -v53
	v_mul_f16_e32 v57, 0xb1e1, v57
	v_add_f16_e32 v64, v66, v64
	v_fma_f16 v66, v45, s10, -v57
	v_add_f16_e32 v64, v66, v64
	v_add_f16_e32 v66, v8, v9
	v_add_f16_sdwa v9, v8, v9 dst_sel:DWORD dst_unused:UNUSED_PAD src0_sel:WORD_1 src1_sel:WORD_1
	v_fma_f16 v164, v67, s16, v164
	v_fma_f16 v146, v67, s23, v146
	;; [unrolled: 1-line block ×3, first 2 shown]
	v_add_f16_e32 v66, v66, v10
	v_add_f16_sdwa v9, v9, v10 dst_sel:DWORD dst_unused:UNUSED_PAD src0_sel:DWORD src1_sel:WORD_1
	v_fma_f16 v10, v31, s12, -v42
	v_add_f16_sdwa v164, v8, v164 dst_sel:DWORD dst_unused:UNUSED_PAD src0_sel:WORD_1 src1_sel:DWORD
	v_fma_f16 v166, v68, s26, v166
	v_add_f16_sdwa v146, v8, v146 dst_sel:DWORD dst_unused:UNUSED_PAD src0_sel:WORD_1 src1_sel:DWORD
	v_fma_f16 v148, v68, s21, v148
	;; [unrolled: 2-line block ×3, first 2 shown]
	v_add_f16_e32 v66, v66, v11
	v_add_f16_sdwa v9, v9, v11 dst_sel:DWORD dst_unused:UNUSED_PAD src0_sel:DWORD src1_sel:WORD_1
	v_add_f16_sdwa v10, v8, v10 dst_sel:DWORD dst_unused:UNUSED_PAD src0_sel:WORD_1 src1_sel:DWORD
	v_fma_f16 v11, v52, s6, -v50
	v_add_f16_e32 v164, v166, v164
	v_fma_f16 v166, v71, s23, v167
	v_add_f16_e32 v146, v148, v146
	v_fma_f16 v148, v71, s24, v149
	;; [unrolled: 2-line block ×3, first 2 shown]
	v_add_f16_e32 v10, v11, v10
	v_fma_f16 v11, v56, s7, -v51
	v_add_f16_e32 v164, v166, v164
	v_fma_f16 v166, v74, s18, v168
	v_add_f16_e32 v146, v148, v146
	v_fma_f16 v148, v74, s25, v150
	v_add_f16_e32 v129, v130, v129
	v_fma_f16 v130, v74, s23, v132
	v_add_f16_e32 v66, v66, v12
	v_add_f16_sdwa v9, v9, v12 dst_sel:DWORD dst_unused:UNUSED_PAD src0_sel:DWORD src1_sel:WORD_1
	v_add_f16_e32 v10, v11, v10
	v_fma_f16 v11, v59, s8, -v54
	v_add_f16_e32 v164, v166, v164
	v_fma_f16 v166, v76, s14, v169
	v_add_f16_e32 v146, v148, v146
	v_fma_f16 v148, v76, s17, v151
	v_add_f16_e32 v129, v130, v129
	v_fma_f16 v130, v76, s29, v133
	v_add_f16_e32 v66, v66, v13
	v_add_f16_sdwa v9, v9, v13 dst_sel:DWORD dst_unused:UNUSED_PAD src0_sel:DWORD src1_sel:WORD_1
	;; [unrolled: 10-line block ×5, first 2 shown]
	v_add_f16_e32 v10, v11, v10
	v_fma_f16 v11, v69, s10, -v62
	v_add_f16_e32 v164, v166, v164
	v_fma_f16 v166, v29, s10, -v173
	;; [unrolled: 2-line block ×4, first 2 shown]
	v_add_f16_e32 v66, v66, v17
	v_add_f16_sdwa v9, v9, v17 dst_sel:DWORD dst_unused:UNUSED_PAD src0_sel:DWORD src1_sel:WORD_1
	v_add_f16_e32 v10, v11, v10
	v_fma_f16 v11, v29, s12, v35
	v_add_f16_e32 v166, v8, v166
	v_add_f16_e32 v148, v8, v148
	;; [unrolled: 1-line block ×4, first 2 shown]
	v_add_f16_sdwa v9, v9, v18 dst_sel:DWORD dst_unused:UNUSED_PAD src0_sel:DWORD src1_sel:WORD_1
	v_add_f16_e32 v8, v8, v11
	v_fma_f16 v11, v32, s6, v37
	v_fma_f16 v149, v32, s7, -v157
	v_add_f16_e32 v66, v66, v19
	v_add_f16_sdwa v9, v9, v19 dst_sel:DWORD dst_unused:UNUSED_PAD src0_sel:DWORD src1_sel:WORD_1
	v_add_f16_e32 v8, v11, v8
	v_fma_f16 v11, v33, s7, v40
	v_add_f16_e32 v148, v149, v148
	v_fma_f16 v149, v33, s8, -v158
	v_fma_f16 v131, v32, s11, -v139
	v_add_f16_e32 v66, v66, v20
	v_add_f16_sdwa v9, v9, v20 dst_sel:DWORD dst_unused:UNUSED_PAD src0_sel:DWORD src1_sel:WORD_1
	v_add_f16_e32 v8, v11, v8
	v_fma_f16 v11, v34, s8, v43
	v_fma_f16 v167, v32, s12, -v175
	v_add_f16_e32 v148, v149, v148
	v_fma_f16 v149, v34, s9, -v159
	v_add_f16_e32 v130, v131, v130
	v_fma_f16 v131, v33, s12, -v140
	v_add_f16_e32 v66, v66, v21
	v_add_f16_sdwa v9, v9, v21 dst_sel:DWORD dst_unused:UNUSED_PAD src0_sel:DWORD src1_sel:WORD_1
	v_add_f16_e32 v8, v11, v8
	v_fma_f16 v11, v36, s11, v47
	v_add_f16_e32 v166, v167, v166
	v_fma_f16 v167, v33, s13, -v176
	v_add_f16_e32 v148, v149, v148
	v_fma_f16 v149, v36, s12, -v160
	v_add_f16_e32 v130, v131, v130
	v_fma_f16 v131, v34, s13, -v141
	v_add_f16_e32 v66, v66, v22
	v_add_f16_sdwa v9, v9, v22 dst_sel:DWORD dst_unused:UNUSED_PAD src0_sel:DWORD src1_sel:WORD_1
	v_add_f16_e32 v8, v11, v8
	v_fma_f16 v11, v39, s9, v49
	v_add_f16_e32 v166, v167, v166
	;; [unrolled: 10-line block ×3, first 2 shown]
	v_fma_f16 v167, v36, s9, -v178
	v_add_f16_e32 v148, v149, v148
	v_fma_f16 v149, v41, s6, -v162
	v_add_f16_e32 v130, v131, v130
	;; [unrolled: 2-line block ×3, first 2 shown]
	v_add_f16_sdwa v9, v9, v30 dst_sel:DWORD dst_unused:UNUSED_PAD src0_sel:DWORD src1_sel:WORD_1
	v_add_f16_e32 v8, v11, v8
	v_fma_f16 v11, v45, s10, v57
	s_movk_i32 s6, 0x44
	v_add_f16_e32 v166, v167, v166
	v_fma_f16 v167, v39, s7, -v179
	v_add_f16_e32 v130, v131, v130
	v_fma_f16 v131, v41, s10, -v144
	v_add_f16_e32 v8, v11, v8
	v_mad_u32_u24 v11, v0, s6, 0
	v_pack_b32_f16 v12, v64, v46
	v_pack_b32_f16 v9, v66, v9
	v_add_f16_e32 v166, v167, v166
	v_fma_f16 v167, v41, s11, -v180
	v_add_f16_e32 v148, v149, v148
	v_fma_f16 v149, v45, s11, -v163
	;; [unrolled: 2-line block ×3, first 2 shown]
	ds_write2_b32 v11, v9, v12 offset1:1
	v_pack_b32_f16 v9, v44, v84
	v_pack_b32_f16 v12, v38, v48
	v_fma_f16 v182, v45, s8, v181
	v_add_f16_e32 v166, v167, v166
	v_fma_f16 v167, v45, s8, -v181
	v_add_f16_e32 v148, v149, v148
	v_add_f16_e32 v130, v131, v130
	ds_write2_b32 v11, v12, v9 offset0:2 offset1:3
	v_pack_b32_f16 v9, v93, v102
	v_pack_b32_f16 v12, v114, v113
	v_add_f16_e32 v174, v182, v174
	v_add_f16_e32 v166, v167, v166
	ds_write2_b32 v11, v9, v12 offset0:4 offset1:5
	v_pack_b32_f16 v9, v148, v146
	v_pack_b32_f16 v12, v130, v129
	ds_write2_b32 v11, v12, v9 offset0:6 offset1:7
	v_pack_b32_f16 v9, v174, v165
	v_pack_b32_f16 v12, v166, v164
	;; [unrolled: 3-line block ×3, first 2 shown]
	s_mov_b32 s6, 0x5040100
	ds_write2_b32 v11, v12, v9 offset0:10 offset1:11
	v_pack_b32_f16 v9, v87, v82
	v_perm_b32 v12, v25, v7, s6
	ds_write2_b32 v11, v9, v12 offset0:12 offset1:13
	v_perm_b32 v9, v1, v5, s6
	v_perm_b32 v12, v26, v4, s6
	v_pack_b32_f16 v8, v8, v10
	ds_write2_b32 v11, v12, v9 offset0:14 offset1:15
	ds_write_b32 v11, v8 offset:64
.LBB0_21:
	s_or_b64 exec, exec, s[2:3]
	s_movk_i32 s2, 0xf1
	v_mul_lo_u16_sdwa v8, v0, s2 dst_sel:DWORD dst_unused:UNUSED_PAD src0_sel:BYTE_0 src1_sel:DWORD
	v_lshrrev_b16_e32 v12, 12, v8
	v_mul_lo_u16_e32 v8, 17, v12
	v_sub_u16_e32 v13, v0, v8
	v_mov_b32_e32 v8, 12
	v_mul_u32_u24_sdwa v8, v13, v8 dst_sel:DWORD dst_unused:UNUSED_PAD src0_sel:BYTE_0 src1_sel:DWORD
	v_lshlrev_b32_e32 v22, 2, v8
	s_waitcnt lgkmcnt(0)
	s_barrier
	global_load_dwordx4 v[8:11], v22, s[4:5]
	global_load_dwordx4 v[14:17], v22, s[4:5] offset:16
	global_load_dwordx4 v[18:21], v22, s[4:5] offset:32
	v_add_u32_e32 v34, 0x400, v24
	ds_read2_b32 v[22:23], v24 offset1:136
	ds_read2_b32 v[30:31], v6 offset0:32 offset1:168
	ds_read2_b32 v[32:33], v27 offset0:48 offset1:184
	;; [unrolled: 1-line block ×3, first 2 shown]
	v_add_u32_e32 v6, 0x1400, v24
	ds_read_b32 v27, v24 offset:6528
	ds_read2_b32 v[34:35], v34 offset0:16 offset1:152
	ds_read2_b32 v[36:37], v6 offset0:80 offset1:216
	s_waitcnt lgkmcnt(5)
	v_lshrrev_b32_e32 v6, 16, v31
	s_waitcnt lgkmcnt(4)
	v_lshrrev_b32_e32 v38, 16, v32
	v_lshrrev_b32_e32 v43, 16, v23
	;; [unrolled: 1-line block ×3, first 2 shown]
	s_waitcnt lgkmcnt(0)
	v_lshrrev_b32_e32 v45, 16, v36
	v_lshrrev_b32_e32 v44, 16, v30
	;; [unrolled: 1-line block ×8, first 2 shown]
	s_movk_i32 s6, 0x3b15
	s_movk_i32 s3, 0x388b
	;; [unrolled: 1-line block ×3, first 2 shown]
	s_mov_b32 s7, 0xb5ac
	s_mov_b32 s8, 0xb9fd
	;; [unrolled: 1-line block ×3, first 2 shown]
	v_mul_u32_u24_e32 v12, 0x374, v12
	s_barrier
	s_waitcnt vmcnt(2)
	v_mul_f16_e32 v49, v8, v23
	v_lshrrev_b32_e32 v50, 16, v8
	v_pk_mul_f16 v8, v8, v23 op_sel:[0,1] op_sel_hi:[1,0]
	v_mul_f16_e32 v23, v9, v34
	v_lshrrev_b32_e32 v51, 16, v9
	v_pk_mul_f16 v9, v9, v34 op_sel:[0,1] op_sel_hi:[1,0]
	v_mul_f16_e32 v34, v10, v35
	v_lshrrev_b32_e32 v52, 16, v10
	v_pk_mul_f16 v10, v10, v35 op_sel:[0,1] op_sel_hi:[1,0]
	v_mul_f16_e32 v35, v11, v30
	v_lshrrev_b32_e32 v53, 16, v11
	v_pk_mul_f16 v11, v11, v30 op_sel:[0,1] op_sel_hi:[1,0]
	s_waitcnt vmcnt(1)
	v_mul_f16_sdwa v30, v6, v14 dst_sel:DWORD dst_unused:UNUSED_PAD src0_sel:DWORD src1_sel:WORD_1
	v_mul_f16_sdwa v54, v31, v14 dst_sel:DWORD dst_unused:UNUSED_PAD src0_sel:DWORD src1_sel:WORD_1
	;; [unrolled: 1-line block ×3, first 2 shown]
	s_waitcnt vmcnt(0)
	v_mul_f16_sdwa v63, v45, v19 dst_sel:DWORD dst_unused:UNUSED_PAD src0_sel:DWORD src1_sel:WORD_1
	v_fma_f16 v43, -v50, v43, v49
	v_mul_f16_sdwa v56, v32, v15 dst_sel:DWORD dst_unused:UNUSED_PAD src0_sel:DWORD src1_sel:WORD_1
	v_mul_f16_sdwa v57, v39, v16 dst_sel:DWORD dst_unused:UNUSED_PAD src0_sel:DWORD src1_sel:WORD_1
	v_mul_f16_sdwa v64, v36, v19 dst_sel:DWORD dst_unused:UNUSED_PAD src0_sel:DWORD src1_sel:WORD_1
	v_mul_f16_sdwa v65, v46, v20 dst_sel:DWORD dst_unused:UNUSED_PAD src0_sel:DWORD src1_sel:WORD_1
	v_add_f16_sdwa v8, v8, v8 dst_sel:DWORD dst_unused:UNUSED_PAD src0_sel:DWORD src1_sel:WORD_1
	v_fma_f16 v23, -v51, v47, v23
	v_fma_f16 v30, v31, v14, -v30
	v_fma_f16 v6, v6, v14, v54
	v_fma_f16 v14, v32, v15, -v55
	v_fma_f16 v32, v36, v19, -v63
	v_add_f16_e32 v36, v43, v22
	v_mul_f16_sdwa v58, v33, v16 dst_sel:DWORD dst_unused:UNUSED_PAD src0_sel:DWORD src1_sel:WORD_1
	v_mul_f16_sdwa v66, v37, v20 dst_sel:DWORD dst_unused:UNUSED_PAD src0_sel:DWORD src1_sel:WORD_1
	v_add_f16_sdwa v9, v9, v9 dst_sel:DWORD dst_unused:UNUSED_PAD src0_sel:DWORD src1_sel:WORD_1
	v_fma_f16 v34, -v52, v48, v34
	v_fma_f16 v31, v33, v16, -v57
	v_fma_f16 v33, v37, v20, -v65
	v_add_f16_sdwa v37, v8, v22 dst_sel:DWORD dst_unused:UNUSED_PAD src0_sel:DWORD src1_sel:WORD_1
	v_add_f16_e32 v36, v36, v23
	v_add_f16_sdwa v10, v10, v10 dst_sel:DWORD dst_unused:UNUSED_PAD src0_sel:DWORD src1_sel:WORD_1
	v_fma_f16 v35, -v53, v44, v35
	v_add_f16_e32 v37, v37, v9
	v_add_f16_e32 v36, v36, v34
	v_add_f16_sdwa v11, v11, v11 dst_sel:DWORD dst_unused:UNUSED_PAD src0_sel:DWORD src1_sel:WORD_1
	v_add_f16_e32 v37, v37, v10
	v_add_f16_e32 v36, v36, v35
	v_add_f16_e32 v37, v37, v11
	v_add_f16_e32 v36, v36, v30
	v_mul_f16_sdwa v59, v40, v17 dst_sel:DWORD dst_unused:UNUSED_PAD src0_sel:DWORD src1_sel:WORD_1
	v_fma_f16 v15, v38, v15, v56
	v_add_f16_e32 v37, v37, v6
	v_add_f16_e32 v36, v36, v14
	v_mul_f16_sdwa v60, v28, v17 dst_sel:DWORD dst_unused:UNUSED_PAD src0_sel:DWORD src1_sel:WORD_1
	v_mul_f16_sdwa v61, v41, v18 dst_sel:DWORD dst_unused:UNUSED_PAD src0_sel:DWORD src1_sel:WORD_1
	v_fma_f16 v16, v39, v16, v58
	v_fma_f16 v28, v28, v17, -v59
	v_add_f16_e32 v37, v37, v15
	v_add_f16_e32 v36, v36, v31
	v_mul_f16_sdwa v62, v29, v18 dst_sel:DWORD dst_unused:UNUSED_PAD src0_sel:DWORD src1_sel:WORD_1
	v_fma_f16 v17, v40, v17, v60
	v_fma_f16 v29, v29, v18, -v61
	v_add_f16_e32 v37, v37, v16
	v_add_f16_e32 v36, v36, v28
	v_fma_f16 v18, v41, v18, v62
	v_add_f16_e32 v37, v37, v17
	v_add_f16_e32 v36, v36, v29
	v_mul_f16_sdwa v67, v42, v21 dst_sel:DWORD dst_unused:UNUSED_PAD src0_sel:DWORD src1_sel:WORD_1
	v_mul_f16_sdwa v68, v27, v21 dst_sel:DWORD dst_unused:UNUSED_PAD src0_sel:DWORD src1_sel:WORD_1
	v_fma_f16 v19, v45, v19, v64
	v_add_f16_e32 v37, v37, v18
	v_add_f16_e32 v36, v36, v32
	v_fma_f16 v20, v46, v20, v66
	v_fma_f16 v27, v27, v21, -v67
	v_fma_f16 v21, v42, v21, v68
	v_add_f16_e32 v37, v37, v19
	v_add_f16_e32 v36, v36, v33
	;; [unrolled: 1-line block ×6, first 2 shown]
	v_sub_f16_e32 v27, v43, v27
	v_sub_f16_e32 v8, v8, v21
	v_add_f16_e32 v37, v37, v21
	v_mul_f16_e32 v21, 0xb770, v8
	v_mul_f16_e32 v41, 0xb770, v27
	;; [unrolled: 1-line block ×12, first 2 shown]
	v_fma_f16 v40, v38, s6, -v21
	v_fma_f16 v42, v39, s6, v41
	v_fma_f16 v21, v38, s6, v21
	v_fma_f16 v41, v39, s6, -v41
	v_fma_f16 v44, v38, s3, -v43
	v_fma_f16 v46, v39, s3, v45
	v_fma_f16 v43, v38, s3, v43
	v_fma_f16 v45, v39, s3, -v45
	;; [unrolled: 4-line block ×6, first 2 shown]
	v_add_f16_e32 v38, v9, v20
	v_sub_f16_e32 v9, v9, v20
	v_add_f16_e32 v40, v40, v22
	v_add_f16_sdwa v42, v42, v22 dst_sel:DWORD dst_unused:UNUSED_PAD src0_sel:DWORD src1_sel:WORD_1
	v_add_f16_e32 v21, v21, v22
	v_add_f16_sdwa v41, v41, v22 dst_sel:DWORD dst_unused:UNUSED_PAD src0_sel:DWORD src1_sel:WORD_1
	v_add_f16_e32 v44, v44, v22
	v_add_f16_sdwa v46, v46, v22 dst_sel:DWORD dst_unused:UNUSED_PAD src0_sel:DWORD src1_sel:WORD_1
	v_add_f16_e32 v43, v43, v22
	v_add_f16_sdwa v45, v45, v22 dst_sel:DWORD dst_unused:UNUSED_PAD src0_sel:DWORD src1_sel:WORD_1
	v_add_f16_e32 v48, v48, v22
	v_add_f16_sdwa v50, v50, v22 dst_sel:DWORD dst_unused:UNUSED_PAD src0_sel:DWORD src1_sel:WORD_1
	v_add_f16_e32 v47, v47, v22
	v_add_f16_sdwa v49, v49, v22 dst_sel:DWORD dst_unused:UNUSED_PAD src0_sel:DWORD src1_sel:WORD_1
	v_add_f16_e32 v52, v52, v22
	v_add_f16_sdwa v54, v54, v22 dst_sel:DWORD dst_unused:UNUSED_PAD src0_sel:DWORD src1_sel:WORD_1
	v_add_f16_e32 v51, v51, v22
	v_add_f16_sdwa v53, v53, v22 dst_sel:DWORD dst_unused:UNUSED_PAD src0_sel:DWORD src1_sel:WORD_1
	v_add_f16_e32 v56, v56, v22
	v_add_f16_sdwa v58, v58, v22 dst_sel:DWORD dst_unused:UNUSED_PAD src0_sel:DWORD src1_sel:WORD_1
	v_add_f16_e32 v55, v55, v22
	v_add_f16_sdwa v57, v57, v22 dst_sel:DWORD dst_unused:UNUSED_PAD src0_sel:DWORD src1_sel:WORD_1
	v_add_f16_e32 v59, v59, v22
	v_add_f16_sdwa v60, v60, v22 dst_sel:DWORD dst_unused:UNUSED_PAD src0_sel:DWORD src1_sel:WORD_1
	v_add_f16_e32 v8, v8, v22
	v_add_f16_sdwa v22, v27, v22 dst_sel:DWORD dst_unused:UNUSED_PAD src0_sel:DWORD src1_sel:WORD_1
	v_add_f16_e32 v27, v23, v33
	v_sub_f16_e32 v23, v23, v33
	v_mul_f16_e32 v20, 0xba95, v9
	v_fma_f16 v33, v27, s3, -v20
	v_mul_f16_e32 v39, 0xba95, v23
	v_fma_f16 v20, v27, s3, v20
	v_add_f16_e32 v33, v33, v40
	v_fma_f16 v40, v38, s3, v39
	v_add_f16_e32 v20, v20, v21
	v_fma_f16 v21, v38, s3, -v39
	v_mul_f16_e32 v39, 0xbb7b, v9
	v_add_f16_e32 v40, v40, v42
	v_add_f16_e32 v21, v21, v41
	v_fma_f16 v41, v27, s7, -v39
	v_mul_f16_e32 v42, 0xbb7b, v23
	v_fma_f16 v39, v27, s7, v39
	v_add_f16_e32 v41, v41, v44
	v_fma_f16 v44, v38, s7, v42
	v_add_f16_e32 v39, v39, v43
	v_fma_f16 v42, v38, s7, -v42
	v_mul_f16_e32 v43, 0xb3a8, v9
	v_add_f16_e32 v44, v44, v46
	v_add_f16_e32 v42, v42, v45
	;; [unrolled: 10-line block ×4, first 2 shown]
	v_fma_f16 v53, v27, s2, -v51
	v_mul_f16_e32 v54, 0x3bf1, v23
	v_fma_f16 v51, v27, s2, v51
	v_mul_f16_e32 v9, 0x3770, v9
	v_add_f16_e32 v53, v53, v56
	v_fma_f16 v56, v38, s2, v54
	v_add_f16_e32 v51, v51, v55
	v_fma_f16 v54, v38, s2, -v54
	v_fma_f16 v55, v27, s6, -v9
	v_mul_f16_e32 v23, 0x3770, v23
	v_fma_f16 v9, v27, s6, v9
	v_add_f16_e32 v54, v54, v57
	v_fma_f16 v57, v38, s6, v23
	v_add_f16_e32 v8, v9, v8
	v_fma_f16 v9, v38, s6, -v23
	v_add_f16_e32 v23, v10, v19
	v_sub_f16_e32 v10, v10, v19
	v_add_f16_e32 v9, v9, v22
	v_add_f16_e32 v22, v34, v32
	v_mul_f16_e32 v19, 0xbbf1, v10
	v_sub_f16_e32 v27, v34, v32
	v_fma_f16 v32, v22, s2, -v19
	v_add_f16_e32 v32, v32, v33
	v_mul_f16_e32 v33, 0xbbf1, v27
	v_fma_f16 v19, v22, s2, v19
	v_add_f16_e32 v19, v19, v20
	v_fma_f16 v20, v23, s2, -v33
	v_add_f16_e32 v20, v20, v21
	v_mul_f16_e32 v21, 0xb3a8, v10
	v_fma_f16 v34, v23, s2, v33
	v_fma_f16 v33, v22, s9, -v21
	v_fma_f16 v21, v22, s9, v21
	v_mul_f16_e32 v38, 0xb3a8, v27
	v_add_f16_e32 v21, v21, v39
	v_mul_f16_e32 v39, 0x3b7b, v10
	v_add_f16_e32 v34, v34, v40
	v_add_f16_e32 v33, v33, v41
	v_fma_f16 v40, v23, s9, v38
	v_fma_f16 v38, v23, s9, -v38
	v_fma_f16 v41, v22, s7, -v39
	v_fma_f16 v39, v22, s7, v39
	v_add_f16_e32 v38, v38, v42
	v_mul_f16_e32 v42, 0x3b7b, v27
	v_add_f16_e32 v39, v39, v43
	v_mul_f16_e32 v43, 0x3770, v10
	v_add_f16_e32 v40, v40, v44
	v_add_f16_e32 v41, v41, v45
	v_fma_f16 v44, v23, s7, v42
	v_fma_f16 v42, v23, s7, -v42
	v_fma_f16 v45, v22, s6, -v43
	v_fma_f16 v43, v22, s6, v43
	v_add_f16_e32 v42, v42, v46
	v_mul_f16_e32 v46, 0x3770, v27
	v_add_f16_e32 v43, v43, v47
	v_mul_f16_e32 v47, 0xba95, v10
	v_add_f16_e32 v44, v44, v48
	v_add_f16_e32 v45, v45, v49
	v_fma_f16 v48, v23, s6, v46
	v_fma_f16 v46, v23, s6, -v46
	v_fma_f16 v49, v22, s3, -v47
	v_fma_f16 v47, v22, s3, v47
	v_mul_f16_e32 v10, 0xb94e, v10
	v_add_f16_e32 v46, v46, v50
	v_mul_f16_e32 v50, 0xba95, v27
	v_add_f16_e32 v47, v47, v51
	v_fma_f16 v51, v22, s8, -v10
	v_mul_f16_e32 v27, 0xb94e, v27
	v_fma_f16 v10, v22, s8, v10
	v_add_f16_e32 v8, v10, v8
	v_fma_f16 v10, v23, s8, -v27
	v_add_f16_e32 v22, v11, v18
	v_sub_f16_e32 v11, v11, v18
	v_add_f16_e32 v48, v48, v52
	v_add_f16_e32 v49, v49, v53
	v_fma_f16 v52, v23, s3, v50
	v_fma_f16 v50, v23, s3, -v50
	v_fma_f16 v53, v23, s8, v27
	v_add_f16_e32 v9, v10, v9
	v_add_f16_e32 v10, v35, v29
	v_sub_f16_e32 v23, v35, v29
	v_mul_f16_e32 v18, 0xbb7b, v11
	v_fma_f16 v27, v10, s7, -v18
	v_mul_f16_e32 v29, 0xbb7b, v23
	v_fma_f16 v18, v10, s7, v18
	v_add_f16_e32 v18, v18, v19
	v_fma_f16 v19, v22, s7, -v29
	v_add_f16_e32 v19, v19, v20
	v_mul_f16_e32 v20, 0x394e, v11
	v_add_f16_e32 v27, v27, v32
	v_fma_f16 v32, v22, s7, v29
	v_fma_f16 v29, v10, s8, -v20
	v_add_f16_e32 v29, v29, v33
	v_mul_f16_e32 v33, 0x394e, v23
	v_fma_f16 v20, v10, s8, v20
	v_add_f16_e32 v32, v32, v34
	v_fma_f16 v34, v22, s8, v33
	v_add_f16_e32 v20, v20, v21
	v_fma_f16 v21, v22, s8, -v33
	v_mul_f16_e32 v33, 0x3770, v11
	v_fma_f16 v35, v10, s6, -v33
	v_fma_f16 v33, v10, s6, v33
	v_add_f16_e32 v21, v21, v38
	v_mul_f16_e32 v38, 0x3770, v23
	v_add_f16_e32 v33, v33, v39
	v_mul_f16_e32 v39, 0xbbf1, v11
	v_add_f16_e32 v34, v34, v40
	v_add_f16_e32 v35, v35, v41
	v_fma_f16 v40, v22, s6, v38
	v_fma_f16 v38, v22, s6, -v38
	v_fma_f16 v41, v10, s2, -v39
	v_fma_f16 v39, v10, s2, v39
	v_add_f16_e32 v38, v38, v42
	v_mul_f16_e32 v42, 0xbbf1, v23
	v_add_f16_e32 v39, v39, v43
	v_mul_f16_e32 v43, 0x33a8, v11
	v_add_f16_e32 v40, v40, v44
	v_add_f16_e32 v41, v41, v45
	v_fma_f16 v44, v22, s2, v42
	v_fma_f16 v42, v22, s2, -v42
	v_fma_f16 v45, v10, s9, -v43
	v_fma_f16 v43, v10, s9, v43
	v_mul_f16_e32 v11, 0x3a95, v11
	v_add_f16_e32 v42, v42, v46
	v_mul_f16_e32 v46, 0x33a8, v23
	v_add_f16_e32 v43, v43, v47
	v_fma_f16 v47, v10, s3, -v11
	v_mul_f16_e32 v23, 0x3a95, v23
	v_fma_f16 v10, v10, s3, v11
	v_add_f16_e32 v8, v10, v8
	v_fma_f16 v10, v22, s3, -v23
	v_add_f16_e32 v11, v6, v17
	v_sub_f16_e32 v6, v6, v17
	v_add_f16_e32 v9, v10, v9
	v_add_f16_e32 v10, v30, v28
	v_mul_f16_e32 v17, 0xb94e, v6
	v_add_f16_e32 v44, v44, v48
	v_add_f16_e32 v45, v45, v49
	v_fma_f16 v48, v22, s9, v46
	v_fma_f16 v46, v22, s9, -v46
	v_fma_f16 v49, v22, s3, v23
	v_sub_f16_e32 v22, v30, v28
	v_fma_f16 v23, v10, s8, -v17
	v_add_f16_e32 v23, v23, v27
	v_mul_f16_e32 v27, 0xb94e, v22
	v_fma_f16 v17, v10, s8, v17
	v_add_f16_e32 v17, v17, v18
	v_fma_f16 v18, v11, s8, -v27
	v_add_f16_e32 v18, v18, v19
	v_mul_f16_e32 v19, 0x3bf1, v6
	v_fma_f16 v28, v11, s8, v27
	v_fma_f16 v27, v10, s2, -v19
	v_add_f16_e32 v27, v27, v29
	v_mul_f16_e32 v29, 0x3bf1, v22
	v_fma_f16 v19, v10, s2, v19
	v_add_f16_e32 v19, v19, v20
	v_fma_f16 v20, v11, s2, -v29
	v_add_f16_e32 v21, v20, v21
	v_mul_f16_e32 v20, 0xba95, v6
	v_add_f16_e32 v28, v28, v32
	v_fma_f16 v30, v11, s2, v29
	v_fma_f16 v29, v10, s3, -v20
	v_mul_f16_e32 v32, 0xba95, v22
	v_fma_f16 v20, v10, s3, v20
	v_add_f16_e32 v33, v20, v33
	v_fma_f16 v20, v11, s3, -v32
	v_add_f16_e32 v30, v30, v34
	v_fma_f16 v34, v11, s3, v32
	v_add_f16_e32 v32, v20, v38
	v_mul_f16_e32 v20, 0x33a8, v6
	v_add_f16_e32 v29, v29, v35
	v_fma_f16 v35, v10, s9, -v20
	v_mul_f16_e32 v38, 0x33a8, v22
	v_fma_f16 v20, v10, s9, v20
	v_add_f16_e32 v39, v20, v39
	v_fma_f16 v20, v11, s9, -v38
	v_add_f16_e32 v34, v34, v40
	v_fma_f16 v40, v11, s9, v38
	v_add_f16_e32 v38, v20, v42
	v_mul_f16_e32 v20, 0x3770, v6
	v_add_f16_e32 v55, v55, v59
	v_add_f16_e32 v50, v50, v54
	;; [unrolled: 1-line block ×3, first 2 shown]
	v_fma_f16 v41, v10, s6, -v20
	v_mul_f16_e32 v42, 0x3770, v22
	v_fma_f16 v20, v10, s6, v20
	v_add_f16_e32 v51, v51, v55
	v_add_f16_e32 v46, v46, v50
	;; [unrolled: 1-line block ×3, first 2 shown]
	v_fma_f16 v20, v11, s6, -v42
	v_mul_f16_e32 v6, 0xbb7b, v6
	v_add_f16_e32 v56, v56, v58
	v_add_f16_e32 v57, v57, v60
	;; [unrolled: 1-line block ×4, first 2 shown]
	v_fma_f16 v44, v11, s6, v42
	v_add_f16_e32 v42, v20, v46
	v_fma_f16 v20, v10, s7, -v6
	v_add_f16_e32 v52, v52, v56
	v_add_f16_e32 v53, v53, v57
	;; [unrolled: 1-line block ×4, first 2 shown]
	v_mul_f16_e32 v20, 0xbb7b, v22
	v_fma_f16 v6, v10, s7, v6
	v_add_f16_e32 v48, v48, v52
	v_add_f16_e32 v49, v49, v53
	v_fma_f16 v22, v11, s7, v20
	v_add_f16_e32 v47, v6, v8
	v_fma_f16 v6, v11, s7, -v20
	v_add_f16_e32 v50, v15, v16
	v_sub_f16_e32 v15, v15, v16
	v_add_f16_e32 v44, v44, v48
	v_add_f16_e32 v46, v22, v49
	;; [unrolled: 1-line block ×4, first 2 shown]
	v_mul_f16_e32 v6, 0xb3a8, v15
	v_sub_f16_e32 v14, v14, v31
	v_fma_f16 v8, v49, s9, -v6
	v_add_f16_e32 v16, v8, v23
	v_mul_f16_e32 v8, 0xb3a8, v14
	v_fma_f16 v9, v50, s9, v8
	v_fma_f16 v8, v50, s9, -v8
	v_add_f16_e32 v20, v8, v18
	v_mul_f16_e32 v8, 0x3770, v15
	v_add_f16_e32 v28, v9, v28
	v_fma_f16 v6, v49, s9, v6
	v_fma_f16 v9, v49, s6, -v8
	v_add_f16_e32 v6, v6, v17
	v_add_f16_e32 v17, v9, v27
	v_mul_f16_e32 v9, 0x3770, v14
	v_fma_f16 v8, v49, s6, v8
	v_add_f16_e32 v11, v8, v19
	v_fma_f16 v8, v50, s6, -v9
	v_add_f16_e32 v22, v8, v21
	v_mul_f16_e32 v8, 0xb94e, v15
	v_fma_f16 v10, v50, s6, v9
	v_fma_f16 v9, v49, s8, -v8
	v_add_f16_e32 v19, v9, v29
	v_mul_f16_e32 v9, 0xb94e, v14
	v_add_f16_e32 v18, v10, v30
	v_fma_f16 v10, v50, s8, v9
	v_fma_f16 v8, v49, s8, v8
	v_add_f16_e32 v29, v10, v34
	v_add_f16_e32 v10, v8, v33
	v_fma_f16 v8, v50, s8, -v9
	v_add_f16_e32 v23, v8, v32
	v_mul_f16_e32 v8, 0x3a95, v15
	v_fma_f16 v9, v49, s3, -v8
	v_mul_f16_e32 v21, 0x3a95, v14
	v_add_f16_e32 v30, v9, v35
	v_fma_f16 v9, v50, s3, v21
	v_fma_f16 v8, v49, s3, v8
	v_add_f16_e32 v31, v9, v40
	v_add_f16_e32 v9, v8, v39
	v_fma_f16 v8, v50, s3, -v21
	v_add_f16_e32 v27, v8, v38
	v_mul_f16_e32 v8, 0xbb7b, v15
	v_fma_f16 v21, v49, s7, -v8
	v_mov_b32_e32 v38, 2
	v_add_f16_e32 v32, v21, v41
	v_mul_f16_e32 v21, 0xbb7b, v14
	v_lshlrev_b32_sdwa v13, v38, v13 dst_sel:DWORD dst_unused:UNUSED_PAD src0_sel:DWORD src1_sel:BYTE_0
	v_fma_f16 v33, v50, s7, v21
	v_mul_f16_e32 v15, 0x3bf1, v15
	v_mul_f16_e32 v14, 0x3bf1, v14
	v_add3_u32 v12, 0, v12, v13
	v_pack_b32_f16 v13, v36, v37
	v_pack_b32_f16 v16, v16, v28
	v_add_f16_e32 v33, v33, v44
	v_fma_f16 v34, v49, s2, -v15
	v_fma_f16 v35, v50, s2, v14
	v_fma_f16 v15, v49, s2, v15
	v_fma_f16 v14, v50, s2, -v14
	ds_write2_b32 v12, v13, v16 offset1:17
	v_pack_b32_f16 v13, v17, v18
	v_pack_b32_f16 v16, v19, v29
	v_fma_f16 v8, v49, s7, v8
	v_fma_f16 v21, v50, s7, -v21
	v_add_f16_e32 v34, v34, v45
	v_add_f16_e32 v35, v35, v46
	;; [unrolled: 1-line block ×4, first 2 shown]
	ds_write2_b32 v12, v13, v16 offset0:34 offset1:51
	v_pack_b32_f16 v13, v30, v31
	v_pack_b32_f16 v16, v32, v33
	v_add_f16_e32 v8, v8, v43
	v_add_f16_e32 v21, v21, v42
	ds_write2_b32 v12, v13, v16 offset0:68 offset1:85
	v_pack_b32_f16 v13, v34, v35
	v_pack_b32_f16 v14, v15, v14
	ds_write2_b32 v12, v13, v14 offset0:102 offset1:119
	v_pack_b32_f16 v13, v8, v21
	v_pack_b32_f16 v14, v9, v27
	;; [unrolled: 3-line block ×3, first 2 shown]
	ds_write2_b32 v12, v13, v14 offset0:170 offset1:187
	v_pack_b32_f16 v13, v6, v20
	v_add_u32_e32 v28, 0x680, v24
	v_add_u32_e32 v29, 0xd80, v24
	;; [unrolled: 1-line block ×3, first 2 shown]
	ds_write_b32 v12, v13 offset:816
	s_waitcnt lgkmcnt(0)
	s_barrier
	ds_read2_b32 v[12:13], v24 offset1:221
	ds_read2_b32 v[14:15], v28 offset0:26 offset1:247
	ds_read2_b32 v[16:17], v29 offset0:20 offset1:241
	;; [unrolled: 1-line block ×3, first 2 shown]
	s_movk_i32 s2, 0x55
	v_cmp_gt_u32_e32 vcc, s2, v0
	s_and_saveexec_b64 s[2:3], vcc
	s_cbranch_execz .LBB0_23
; %bb.22:
	v_add_u32_e32 v1, 0x200, v24
	ds_read2_b32 v[8:9], v1 offset0:8 offset1:229
	v_add_u32_e32 v1, 0x900, v24
	v_add_u32_e32 v4, 0xf80, v24
	ds_read2_b32 v[10:11], v1 offset0:2 offset1:223
	ds_read2_b32 v[6:7], v4 offset0:28 offset1:249
	v_add_u32_e32 v1, 0x1680, v24
	ds_read2_b32 v[4:5], v1 offset0:22 offset1:243
	s_waitcnt lgkmcnt(3)
	v_lshrrev_b32_e32 v21, 16, v8
	s_waitcnt lgkmcnt(2)
	v_lshrrev_b32_e32 v23, 16, v10
	v_lshrrev_b32_e32 v22, 16, v11
	s_waitcnt lgkmcnt(1)
	v_lshrrev_b32_e32 v20, 16, v6
	;; [unrolled: 3-line block ×3, first 2 shown]
	v_lshrrev_b32_e32 v1, 16, v5
	v_lshrrev_b32_e32 v27, 16, v9
.LBB0_23:
	s_or_b64 exec, exec, s[2:3]
	v_mul_u32_u24_e32 v31, 7, v0
	v_lshlrev_b32_e32 v31, 2, v31
	global_load_dwordx4 v[32:35], v31, s[4:5] offset:816
	global_load_dwordx3 v[36:38], v31, s[4:5] offset:832
	s_waitcnt lgkmcnt(0)
	v_lshrrev_b32_e32 v39, 16, v19
	v_lshrrev_b32_e32 v40, 16, v18
	;; [unrolled: 1-line block ×8, first 2 shown]
	s_mov_b32 s6, 0xb9a8
	s_movk_i32 s7, 0x39a8
	s_barrier
	s_waitcnt vmcnt(1)
	v_mul_f16_sdwa v46, v32, v45 dst_sel:DWORD dst_unused:UNUSED_PAD src0_sel:WORD_1 src1_sel:DWORD
	v_mul_f16_sdwa v47, v32, v13 dst_sel:DWORD dst_unused:UNUSED_PAD src0_sel:WORD_1 src1_sel:DWORD
	;; [unrolled: 1-line block ×8, first 2 shown]
	s_waitcnt vmcnt(0)
	v_mul_f16_sdwa v54, v36, v41 dst_sel:DWORD dst_unused:UNUSED_PAD src0_sel:WORD_1 src1_sel:DWORD
	v_mul_f16_sdwa v55, v36, v17 dst_sel:DWORD dst_unused:UNUSED_PAD src0_sel:WORD_1 src1_sel:DWORD
	;; [unrolled: 1-line block ×6, first 2 shown]
	v_fma_f16 v13, v32, v13, -v46
	v_fma_f16 v32, v32, v45, v47
	v_fma_f16 v14, v33, v14, -v48
	v_fma_f16 v33, v33, v44, v49
	;; [unrolled: 2-line block ×7, first 2 shown]
	v_sub_f16_e32 v16, v12, v16
	v_sub_f16_e32 v35, v31, v35
	;; [unrolled: 1-line block ×8, first 2 shown]
	v_fma_f16 v12, v12, 2.0, -v16
	v_fma_f16 v31, v31, 2.0, -v35
	v_fma_f16 v14, v14, 2.0, -v18
	v_fma_f16 v33, v33, 2.0, -v37
	v_fma_f16 v13, v13, 2.0, -v17
	v_fma_f16 v32, v32, 2.0, -v36
	v_fma_f16 v15, v15, 2.0, -v19
	v_fma_f16 v34, v34, 2.0, -v38
	v_sub_f16_e32 v37, v16, v37
	v_add_f16_e32 v18, v35, v18
	v_sub_f16_e32 v38, v17, v38
	v_add_f16_e32 v19, v36, v19
	v_sub_f16_e32 v14, v12, v14
	v_sub_f16_e32 v33, v31, v33
	v_fma_f16 v16, v16, 2.0, -v37
	v_fma_f16 v35, v35, 2.0, -v18
	v_sub_f16_e32 v15, v13, v15
	v_sub_f16_e32 v34, v32, v34
	v_fma_f16 v17, v17, 2.0, -v38
	v_fma_f16 v36, v36, 2.0, -v19
	;; [unrolled: 1-line block ×6, first 2 shown]
	v_fma_f16 v41, v17, s6, v16
	v_fma_f16 v42, v36, s6, v35
	;; [unrolled: 1-line block ×4, first 2 shown]
	v_sub_f16_e32 v13, v12, v13
	v_sub_f16_e32 v32, v31, v32
	v_fma_f16 v36, v36, s6, v41
	v_fma_f16 v17, v17, s7, v42
	v_sub_f16_e32 v34, v14, v34
	v_add_f16_e32 v15, v33, v15
	v_fma_f16 v12, v12, 2.0, -v13
	v_fma_f16 v31, v31, 2.0, -v32
	;; [unrolled: 1-line block ×4, first 2 shown]
	v_fma_f16 v19, v19, s6, v39
	v_fma_f16 v38, v38, s7, v40
	v_fma_f16 v14, v14, 2.0, -v34
	v_fma_f16 v33, v33, 2.0, -v15
	;; [unrolled: 1-line block ×4, first 2 shown]
	v_pack_b32_f16 v12, v12, v31
	v_pack_b32_f16 v16, v16, v35
	ds_write2_b32 v24, v12, v16 offset1:221
	v_pack_b32_f16 v12, v14, v33
	v_pack_b32_f16 v14, v37, v18
	ds_write2_b32 v28, v12, v14 offset0:26 offset1:247
	v_pack_b32_f16 v12, v13, v32
	v_pack_b32_f16 v13, v36, v17
	ds_write2_b32 v29, v12, v13 offset0:20 offset1:241
	;; [unrolled: 3-line block ×3, first 2 shown]
	s_and_saveexec_b64 s[2:3], vcc
	s_cbranch_execz .LBB0_25
; %bb.24:
	v_add_u32_e32 v12, 0x88, v0
	v_add_u32_e32 v13, 0xffffffab, v0
	v_cndmask_b32_e32 v12, v13, v12, vcc
	v_mul_i32_i24_e32 v12, 7, v12
	v_mov_b32_e32 v13, 0
	v_lshl_add_u64 v[28:29], v[12:13], 2, s[4:5]
	global_load_dwordx4 v[12:15], v[28:29], off offset:816
	global_load_dwordx3 v[16:18], v[28:29], off offset:832
	v_add_u32_e32 v19, 0x200, v24
	s_waitcnt vmcnt(1)
	v_mul_f16_sdwa v28, v20, v15 dst_sel:DWORD dst_unused:UNUSED_PAD src0_sel:DWORD src1_sel:WORD_1
	v_mul_f16_sdwa v29, v10, v13 dst_sel:DWORD dst_unused:UNUSED_PAD src0_sel:DWORD src1_sel:WORD_1
	s_waitcnt vmcnt(0)
	v_mul_f16_sdwa v30, v4, v17 dst_sel:DWORD dst_unused:UNUSED_PAD src0_sel:DWORD src1_sel:WORD_1
	v_mul_f16_sdwa v31, v27, v12 dst_sel:DWORD dst_unused:UNUSED_PAD src0_sel:DWORD src1_sel:WORD_1
	;; [unrolled: 1-line block ×12, first 2 shown]
	v_fma_f16 v6, v6, v15, -v28
	v_fma_f16 v23, v23, v13, v29
	v_fma_f16 v26, v26, v17, v30
	v_fma_f16 v9, v9, v12, -v31
	v_fma_f16 v7, v7, v16, -v32
	v_fma_f16 v22, v22, v14, v33
	v_fma_f16 v1, v1, v18, v34
	;; [unrolled: 1-line block ×4, first 2 shown]
	v_fma_f16 v11, v11, v14, -v37
	v_fma_f16 v5, v5, v18, -v38
	v_fma_f16 v14, v20, v15, v39
	v_fma_f16 v10, v10, v13, -v40
	v_fma_f16 v4, v4, v17, -v41
	v_sub_f16_e32 v6, v8, v6
	v_sub_f16_e32 v13, v23, v26
	;; [unrolled: 1-line block ×10, first 2 shown]
	v_add_f16_e32 v18, v15, v5
	v_add_f16_e32 v20, v14, v4
	v_fma_f16 v8, v8, 2.0, -v6
	v_fma_f16 v4, v10, 2.0, -v4
	;; [unrolled: 1-line block ×8, first 2 shown]
	v_fma_f16 v11, v17, s7, v16
	v_fma_f16 v21, v18, s7, v20
	v_sub_f16_e32 v4, v8, v4
	v_sub_f16_e32 v1, v10, v1
	;; [unrolled: 1-line block ×4, first 2 shown]
	v_fma_f16 v6, v6, 2.0, -v16
	v_fma_f16 v7, v7, 2.0, -v17
	;; [unrolled: 1-line block ×4, first 2 shown]
	v_fma_f16 v11, v18, s6, v11
	v_fma_f16 v17, v17, s7, v21
	v_sub_f16_e32 v18, v4, v1
	v_add_f16_e32 v21, v13, v5
	v_fma_f16 v22, v7, s6, v6
	v_fma_f16 v23, v15, s6, v14
	v_fma_f16 v8, v8, 2.0, -v4
	v_fma_f16 v5, v9, 2.0, -v5
	;; [unrolled: 1-line block ×4, first 2 shown]
	v_fma_f16 v15, v15, s6, v22
	v_fma_f16 v7, v7, s7, v23
	v_sub_f16_e32 v5, v8, v5
	v_sub_f16_e32 v1, v9, v1
	v_fma_f16 v6, v6, 2.0, -v15
	v_fma_f16 v14, v14, 2.0, -v7
	v_fma_f16 v8, v8, 2.0, -v5
	v_fma_f16 v9, v9, 2.0, -v1
	v_fma_f16 v10, v16, 2.0, -v11
	v_fma_f16 v12, v20, 2.0, -v17
	v_fma_f16 v4, v4, 2.0, -v18
	v_fma_f16 v13, v13, 2.0, -v21
	v_pack_b32_f16 v8, v8, v9
	v_pack_b32_f16 v6, v6, v14
	;; [unrolled: 1-line block ×4, first 2 shown]
	ds_write2_b32 v19, v8, v6 offset0:8 offset1:229
	v_add_u32_e32 v6, 0x900, v24
	ds_write2_b32 v6, v4, v10 offset0:2 offset1:223
	v_pack_b32_f16 v1, v5, v1
	v_pack_b32_f16 v4, v15, v7
	v_add_u32_e32 v5, 0xf80, v24
	ds_write2_b32 v5, v1, v4 offset0:28 offset1:249
	v_pack_b32_f16 v1, v18, v21
	v_pack_b32_f16 v4, v11, v17
	v_add_u32_e32 v5, 0x1680, v24
	ds_write2_b32 v5, v1, v4 offset0:22 offset1:243
.LBB0_25:
	s_or_b64 exec, exec, s[2:3]
	s_waitcnt lgkmcnt(0)
	s_barrier
	s_and_saveexec_b64 s[2:3], s[0:1]
	s_cbranch_execz .LBB0_27
; %bb.26:
	v_lshl_add_u32 v10, v0, 2, 0
	ds_read2_b32 v[4:5], v10 offset1:136
	v_mov_b32_e32 v1, 0
	v_lshl_add_u64 v[8:9], v[0:1], 2, v[2:3]
	v_add_u32_e32 v6, 0x88, v0
	v_mov_b32_e32 v7, v1
	s_waitcnt lgkmcnt(0)
	global_store_dword v[8:9], v4, off
	v_add_u32_e32 v4, 0x400, v10
	ds_read2_b32 v[8:9], v4 offset0:16 offset1:152
	v_lshl_add_u64 v[6:7], v[6:7], 2, v[2:3]
	global_store_dword v[6:7], v5, off
	v_add_u32_e32 v4, 0x110, v0
	v_mov_b32_e32 v5, v1
	v_add_u32_e32 v6, 0x800, v10
	v_lshl_add_u64 v[4:5], v[4:5], 2, v[2:3]
	ds_read2_b32 v[6:7], v6 offset0:32 offset1:168
	s_waitcnt lgkmcnt(1)
	global_store_dword v[4:5], v8, off
	v_add_u32_e32 v4, 0x198, v0
	v_mov_b32_e32 v5, v1
	v_lshl_add_u64 v[4:5], v[4:5], 2, v[2:3]
	global_store_dword v[4:5], v9, off
	v_add_u32_e32 v4, 0x220, v0
	v_mov_b32_e32 v5, v1
	v_lshl_add_u64 v[4:5], v[4:5], 2, v[2:3]
	s_waitcnt lgkmcnt(0)
	global_store_dword v[4:5], v6, off
	v_add_u32_e32 v6, 0xc00, v10
	ds_read2_b32 v[8:9], v6 offset0:48 offset1:184
	v_add_u32_e32 v4, 0x2a8, v0
	v_mov_b32_e32 v5, v1
	v_lshl_add_u64 v[4:5], v[4:5], 2, v[2:3]
	global_store_dword v[4:5], v7, off
	v_add_u32_e32 v4, 0x330, v0
	v_mov_b32_e32 v5, v1
	v_add_u32_e32 v6, 0x1000, v10
	v_lshl_add_u64 v[4:5], v[4:5], 2, v[2:3]
	ds_read2_b32 v[6:7], v6 offset0:64 offset1:200
	s_waitcnt lgkmcnt(1)
	global_store_dword v[4:5], v8, off
	v_add_u32_e32 v4, 0x3b8, v0
	v_mov_b32_e32 v5, v1
	v_lshl_add_u64 v[4:5], v[4:5], 2, v[2:3]
	global_store_dword v[4:5], v9, off
	v_add_u32_e32 v4, 0x440, v0
	v_mov_b32_e32 v5, v1
	v_lshl_add_u64 v[4:5], v[4:5], 2, v[2:3]
	s_waitcnt lgkmcnt(0)
	global_store_dword v[4:5], v6, off
	v_add_u32_e32 v6, 0x1400, v10
	ds_read2_b32 v[8:9], v6 offset0:80 offset1:216
	v_add_u32_e32 v4, 0x4c8, v0
	v_mov_b32_e32 v5, v1
	v_lshl_add_u64 v[4:5], v[4:5], 2, v[2:3]
	ds_read_b32 v6, v10 offset:6528
	global_store_dword v[4:5], v7, off
	v_add_u32_e32 v4, 0x550, v0
	v_mov_b32_e32 v5, v1
	v_lshl_add_u64 v[4:5], v[4:5], 2, v[2:3]
	s_waitcnt lgkmcnt(1)
	global_store_dword v[4:5], v8, off
	v_add_u32_e32 v4, 0x5d8, v0
	v_mov_b32_e32 v5, v1
	v_add_u32_e32 v0, 0x660, v0
	v_lshl_add_u64 v[4:5], v[4:5], 2, v[2:3]
	v_lshl_add_u64 v[0:1], v[0:1], 2, v[2:3]
	global_store_dword v[4:5], v9, off
	s_waitcnt lgkmcnt(0)
	global_store_dword v[0:1], v6, off
.LBB0_27:
	s_endpgm
	.section	.rodata,"a",@progbits
	.p2align	6, 0x0
	.amdhsa_kernel fft_rtc_fwd_len1768_factors_17_13_8_wgs_136_tpt_136_halfLds_half_ip_CI_unitstride_sbrr_C2R_dirReg
		.amdhsa_group_segment_fixed_size 0
		.amdhsa_private_segment_fixed_size 0
		.amdhsa_kernarg_size 88
		.amdhsa_user_sgpr_count 2
		.amdhsa_user_sgpr_dispatch_ptr 0
		.amdhsa_user_sgpr_queue_ptr 0
		.amdhsa_user_sgpr_kernarg_segment_ptr 1
		.amdhsa_user_sgpr_dispatch_id 0
		.amdhsa_user_sgpr_kernarg_preload_length 0
		.amdhsa_user_sgpr_kernarg_preload_offset 0
		.amdhsa_user_sgpr_private_segment_size 0
		.amdhsa_uses_dynamic_stack 0
		.amdhsa_enable_private_segment 0
		.amdhsa_system_sgpr_workgroup_id_x 1
		.amdhsa_system_sgpr_workgroup_id_y 0
		.amdhsa_system_sgpr_workgroup_id_z 0
		.amdhsa_system_sgpr_workgroup_info 0
		.amdhsa_system_vgpr_workitem_id 0
		.amdhsa_next_free_vgpr 183
		.amdhsa_next_free_sgpr 30
		.amdhsa_accum_offset 184
		.amdhsa_reserve_vcc 1
		.amdhsa_float_round_mode_32 0
		.amdhsa_float_round_mode_16_64 0
		.amdhsa_float_denorm_mode_32 3
		.amdhsa_float_denorm_mode_16_64 3
		.amdhsa_dx10_clamp 1
		.amdhsa_ieee_mode 1
		.amdhsa_fp16_overflow 0
		.amdhsa_tg_split 0
		.amdhsa_exception_fp_ieee_invalid_op 0
		.amdhsa_exception_fp_denorm_src 0
		.amdhsa_exception_fp_ieee_div_zero 0
		.amdhsa_exception_fp_ieee_overflow 0
		.amdhsa_exception_fp_ieee_underflow 0
		.amdhsa_exception_fp_ieee_inexact 0
		.amdhsa_exception_int_div_zero 0
	.end_amdhsa_kernel
	.text
.Lfunc_end0:
	.size	fft_rtc_fwd_len1768_factors_17_13_8_wgs_136_tpt_136_halfLds_half_ip_CI_unitstride_sbrr_C2R_dirReg, .Lfunc_end0-fft_rtc_fwd_len1768_factors_17_13_8_wgs_136_tpt_136_halfLds_half_ip_CI_unitstride_sbrr_C2R_dirReg
                                        ; -- End function
	.section	.AMDGPU.csdata,"",@progbits
; Kernel info:
; codeLenInByte = 13660
; NumSgprs: 36
; NumVgprs: 183
; NumAgprs: 0
; TotalNumVgprs: 183
; ScratchSize: 0
; MemoryBound: 0
; FloatMode: 240
; IeeeMode: 1
; LDSByteSize: 0 bytes/workgroup (compile time only)
; SGPRBlocks: 4
; VGPRBlocks: 22
; NumSGPRsForWavesPerEU: 36
; NumVGPRsForWavesPerEU: 183
; AccumOffset: 184
; Occupancy: 2
; WaveLimiterHint : 1
; COMPUTE_PGM_RSRC2:SCRATCH_EN: 0
; COMPUTE_PGM_RSRC2:USER_SGPR: 2
; COMPUTE_PGM_RSRC2:TRAP_HANDLER: 0
; COMPUTE_PGM_RSRC2:TGID_X_EN: 1
; COMPUTE_PGM_RSRC2:TGID_Y_EN: 0
; COMPUTE_PGM_RSRC2:TGID_Z_EN: 0
; COMPUTE_PGM_RSRC2:TIDIG_COMP_CNT: 0
; COMPUTE_PGM_RSRC3_GFX90A:ACCUM_OFFSET: 45
; COMPUTE_PGM_RSRC3_GFX90A:TG_SPLIT: 0
	.text
	.p2alignl 6, 3212836864
	.fill 256, 4, 3212836864
	.type	__hip_cuid_fa4de84743c55639,@object ; @__hip_cuid_fa4de84743c55639
	.section	.bss,"aw",@nobits
	.globl	__hip_cuid_fa4de84743c55639
__hip_cuid_fa4de84743c55639:
	.byte	0                               ; 0x0
	.size	__hip_cuid_fa4de84743c55639, 1

	.ident	"AMD clang version 19.0.0git (https://github.com/RadeonOpenCompute/llvm-project roc-6.4.0 25133 c7fe45cf4b819c5991fe208aaa96edf142730f1d)"
	.section	".note.GNU-stack","",@progbits
	.addrsig
	.addrsig_sym __hip_cuid_fa4de84743c55639
	.amdgpu_metadata
---
amdhsa.kernels:
  - .agpr_count:     0
    .args:
      - .actual_access:  read_only
        .address_space:  global
        .offset:         0
        .size:           8
        .value_kind:     global_buffer
      - .offset:         8
        .size:           8
        .value_kind:     by_value
      - .actual_access:  read_only
        .address_space:  global
        .offset:         16
        .size:           8
        .value_kind:     global_buffer
      - .actual_access:  read_only
        .address_space:  global
        .offset:         24
        .size:           8
        .value_kind:     global_buffer
      - .offset:         32
        .size:           8
        .value_kind:     by_value
      - .actual_access:  read_only
        .address_space:  global
        .offset:         40
        .size:           8
        .value_kind:     global_buffer
      - .actual_access:  read_only
        .address_space:  global
        .offset:         48
        .size:           8
        .value_kind:     global_buffer
      - .offset:         56
        .size:           4
        .value_kind:     by_value
      - .actual_access:  read_only
        .address_space:  global
        .offset:         64
        .size:           8
        .value_kind:     global_buffer
      - .actual_access:  read_only
        .address_space:  global
        .offset:         72
        .size:           8
        .value_kind:     global_buffer
      - .address_space:  global
        .offset:         80
        .size:           8
        .value_kind:     global_buffer
    .group_segment_fixed_size: 0
    .kernarg_segment_align: 8
    .kernarg_segment_size: 88
    .language:       OpenCL C
    .language_version:
      - 2
      - 0
    .max_flat_workgroup_size: 136
    .name:           fft_rtc_fwd_len1768_factors_17_13_8_wgs_136_tpt_136_halfLds_half_ip_CI_unitstride_sbrr_C2R_dirReg
    .private_segment_fixed_size: 0
    .sgpr_count:     36
    .sgpr_spill_count: 0
    .symbol:         fft_rtc_fwd_len1768_factors_17_13_8_wgs_136_tpt_136_halfLds_half_ip_CI_unitstride_sbrr_C2R_dirReg.kd
    .uniform_work_group_size: 1
    .uses_dynamic_stack: false
    .vgpr_count:     183
    .vgpr_spill_count: 0
    .wavefront_size: 64
amdhsa.target:   amdgcn-amd-amdhsa--gfx950
amdhsa.version:
  - 1
  - 2
...

	.end_amdgpu_metadata
